;; amdgpu-corpus repo=ROCm/rocFFT kind=compiled arch=gfx1030 opt=O3
	.text
	.amdgcn_target "amdgcn-amd-amdhsa--gfx1030"
	.amdhsa_code_object_version 6
	.protected	fft_rtc_back_len289_factors_17_17_wgs_119_tpt_17_dp_op_CI_CI_sbcc_twdbase8_2step_dirReg_intrinsicRead ; -- Begin function fft_rtc_back_len289_factors_17_17_wgs_119_tpt_17_dp_op_CI_CI_sbcc_twdbase8_2step_dirReg_intrinsicRead
	.globl	fft_rtc_back_len289_factors_17_17_wgs_119_tpt_17_dp_op_CI_CI_sbcc_twdbase8_2step_dirReg_intrinsicRead
	.p2align	8
	.type	fft_rtc_back_len289_factors_17_17_wgs_119_tpt_17_dp_op_CI_CI_sbcc_twdbase8_2step_dirReg_intrinsicRead,@function
fft_rtc_back_len289_factors_17_17_wgs_119_tpt_17_dp_op_CI_CI_sbcc_twdbase8_2step_dirReg_intrinsicRead: ; @fft_rtc_back_len289_factors_17_17_wgs_119_tpt_17_dp_op_CI_CI_sbcc_twdbase8_2step_dirReg_intrinsicRead
; %bb.0:
	s_clause 0x1
	s_load_dwordx4 s[20:23], s[4:5], 0x18
	s_load_dwordx2 s[24:25], s[4:5], 0x28
	s_mov_b64 s[70:71], s[2:3]
	s_mov_b64 s[68:69], s[0:1]
	v_mov_b32_e32 v248, v0
	s_add_u32 s68, s68, s7
	s_addc_u32 s69, s69, 0
	s_mov_b64 s[28:29], 0
	s_waitcnt lgkmcnt(0)
	s_load_dwordx2 s[34:35], s[20:21], 0x8
	s_waitcnt lgkmcnt(0)
	s_add_u32 s0, s34, -1
	s_addc_u32 s1, s35, -1
	s_add_u32 s2, 0, 0x92481000
	s_addc_u32 s3, 0, 0x64
	s_mul_hi_u32 s8, s2, -7
	s_add_i32 s3, s3, 0x249248c0
	s_sub_i32 s8, s8, s2
	s_mul_i32 s10, s3, -7
	s_mul_i32 s7, s2, -7
	s_add_i32 s8, s8, s10
	s_mul_hi_u32 s9, s2, s7
	s_mul_i32 s12, s2, s8
	s_mul_hi_u32 s10, s2, s8
	s_mul_hi_u32 s11, s3, s7
	s_mul_i32 s7, s3, s7
	s_add_u32 s9, s9, s12
	s_addc_u32 s10, 0, s10
	s_mul_hi_u32 s13, s3, s8
	s_add_u32 s7, s9, s7
	s_mul_i32 s8, s3, s8
	s_addc_u32 s7, s10, s11
	s_addc_u32 s9, s13, 0
	s_add_u32 s7, s7, s8
	v_add_co_u32 v0, s2, s2, s7
	s_addc_u32 s7, 0, s9
	s_cmp_lg_u32 s2, 0
	s_addc_u32 s2, s3, s7
	v_readfirstlane_b32 s3, v0
	s_mul_i32 s8, s0, s2
	s_mul_hi_u32 s7, s0, s2
	s_mul_hi_u32 s9, s1, s2
	s_mul_i32 s2, s1, s2
	s_mul_hi_u32 s10, s0, s3
	s_mul_hi_u32 s11, s1, s3
	s_mul_i32 s3, s1, s3
	s_add_u32 s8, s10, s8
	s_addc_u32 s7, 0, s7
	s_add_u32 s3, s8, s3
	s_addc_u32 s3, s7, s11
	s_addc_u32 s7, s9, 0
	s_add_u32 s2, s3, s2
	s_addc_u32 s3, 0, s7
	s_mul_i32 s8, s2, 7
	s_add_u32 s7, s2, 1
	v_sub_co_u32 v0, s0, s0, s8
	s_mul_hi_u32 s8, s2, 7
	s_addc_u32 s9, s3, 0
	s_mul_i32 s10, s3, 7
	v_sub_co_u32 v1, s11, v0, 7
	s_add_u32 s12, s2, 2
	s_addc_u32 s13, s3, 0
	s_add_i32 s8, s8, s10
	s_cmp_lg_u32 s0, 0
	v_readfirstlane_b32 s0, v1
	s_subb_u32 s1, s1, s8
	s_cmp_lg_u32 s11, 0
	s_subb_u32 s8, s1, 0
	s_cmp_gt_u32 s0, 6
	s_cselect_b32 s0, -1, 0
	s_cmp_eq_u32 s8, 0
	v_readfirstlane_b32 s8, v0
	s_cselect_b32 s0, s0, -1
	s_cmp_lg_u32 s0, 0
	s_cselect_b32 s0, s12, s7
	s_cselect_b32 s9, s13, s9
	s_cmp_gt_u32 s8, 6
	s_cselect_b32 s7, -1, 0
	s_cmp_eq_u32 s1, 0
	s_cselect_b32 s1, s7, -1
	s_mov_b32 s7, 0
	s_cmp_lg_u32 s1, 0
	s_cselect_b32 s0, s0, s2
	s_cselect_b32 s1, s9, s3
	s_add_u32 s36, s0, 1
	s_addc_u32 s37, s1, 0
	v_cmp_lt_u64_e64 s0, s[6:7], s[36:37]
	s_and_b32 vcc_lo, exec_lo, s0
	s_cbranch_vccnz .LBB0_2
; %bb.1:
	v_cvt_f32_u32_e32 v0, s36
	s_sub_i32 s1, 0, s36
	s_mov_b32 s29, s7
	v_rcp_iflag_f32_e32 v0, v0
	v_mul_f32_e32 v0, 0x4f7ffffe, v0
	v_cvt_u32_f32_e32 v0, v0
	v_readfirstlane_b32 s0, v0
	s_mul_i32 s1, s1, s0
	s_mul_hi_u32 s1, s0, s1
	s_add_i32 s0, s0, s1
	s_mul_hi_u32 s0, s6, s0
	s_mul_i32 s1, s0, s36
	s_add_i32 s2, s0, 1
	s_sub_i32 s1, s6, s1
	s_sub_i32 s3, s1, s36
	s_cmp_ge_u32 s1, s36
	s_cselect_b32 s0, s2, s0
	s_cselect_b32 s1, s3, s1
	s_add_i32 s2, s0, 1
	s_cmp_ge_u32 s1, s36
	s_cselect_b32 s28, s2, s0
.LBB0_2:
	s_load_dwordx4 s[16:19], s[22:23], 0x0
	s_load_dwordx4 s[0:3], s[24:25], 0x0
	s_clause 0x1
	s_load_dwordx4 s[12:15], s[4:5], 0x8
	s_load_dwordx2 s[30:31], s[4:5], 0x0
	s_mul_i32 s8, s28, s37
	s_mul_hi_u32 s9, s28, s36
	s_mul_i32 s10, s28, s36
	s_add_i32 s9, s9, s8
	s_sub_u32 s33, s6, s10
	s_subb_u32 s8, 0, s9
	s_waitcnt lgkmcnt(0)
	s_mul_hi_u32 s17, s33, 7
	s_mul_i32 s26, s8, 7
	s_load_dwordx4 s[8:11], s[4:5], 0x60
	s_add_i32 s17, s17, s26
	s_mul_i32 s33, s33, 7
	s_mul_i32 s4, s18, s17
	s_mul_hi_u32 s5, s18, s33
	v_cmp_lt_u64_e64 s39, s[14:15], 3
	s_mul_i32 s26, s2, s17
	s_mul_hi_u32 s27, s2, s33
	s_mul_i32 s19, s19, s33
	s_mul_i32 s38, s3, s33
	s_add_i32 s4, s5, s4
	s_add_i32 s5, s27, s26
	;; [unrolled: 1-line block ×3, first 2 shown]
	s_mul_i32 s19, s18, s33
	s_add_i32 s27, s5, s38
	s_and_b32 vcc_lo, exec_lo, s39
	s_mul_i32 s26, s2, s33
	s_cbranch_vccnz .LBB0_12
; %bb.3:
	s_add_u32 s4, s24, 16
	s_addc_u32 s5, s25, 0
	s_add_u32 s38, s22, 16
	s_addc_u32 s39, s23, 0
	;; [unrolled: 2-line block ×3, first 2 shown]
	s_mov_b64 s[40:41], 2
	s_mov_b32 s42, 0
.LBB0_4:                                ; =>This Inner Loop Header: Depth=1
	s_load_dwordx2 s[44:45], s[20:21], 0x0
	s_waitcnt lgkmcnt(0)
	s_or_b64 s[46:47], s[28:29], s[44:45]
	s_mov_b32 s43, s47
                                        ; implicit-def: $sgpr46_sgpr47
	s_cmp_lg_u64 s[42:43], 0
	s_mov_b32 s43, -1
	s_cbranch_scc0 .LBB0_6
; %bb.5:                                ;   in Loop: Header=BB0_4 Depth=1
	v_cvt_f32_u32_e32 v0, s44
	v_cvt_f32_u32_e32 v1, s45
	s_sub_u32 s47, 0, s44
	s_subb_u32 s49, 0, s45
	v_fmac_f32_e32 v0, 0x4f800000, v1
	v_rcp_f32_e32 v0, v0
	v_mul_f32_e32 v0, 0x5f7ffffc, v0
	v_mul_f32_e32 v1, 0x2f800000, v0
	v_trunc_f32_e32 v1, v1
	v_fmac_f32_e32 v0, 0xcf800000, v1
	v_cvt_u32_f32_e32 v1, v1
	v_cvt_u32_f32_e32 v0, v0
	v_readfirstlane_b32 s43, v1
	v_readfirstlane_b32 s46, v0
	s_mul_i32 s50, s47, s43
	s_mul_hi_u32 s52, s47, s46
	s_mul_i32 s51, s49, s46
	s_add_i32 s50, s52, s50
	s_mul_i32 s53, s47, s46
	s_add_i32 s50, s50, s51
	s_mul_hi_u32 s52, s46, s53
	s_mul_hi_u32 s54, s43, s53
	s_mul_i32 s51, s43, s53
	s_mul_hi_u32 s53, s46, s50
	s_mul_i32 s46, s46, s50
	s_mul_hi_u32 s55, s43, s50
	s_add_u32 s46, s52, s46
	s_addc_u32 s52, 0, s53
	s_add_u32 s46, s46, s51
	s_mul_i32 s50, s43, s50
	s_addc_u32 s46, s52, s54
	s_addc_u32 s51, s55, 0
	s_add_u32 s46, s46, s50
	s_addc_u32 s50, 0, s51
	v_add_co_u32 v0, s46, v0, s46
	s_cmp_lg_u32 s46, 0
	s_addc_u32 s43, s43, s50
	v_readfirstlane_b32 s46, v0
	s_mul_i32 s50, s47, s43
	s_mul_hi_u32 s51, s47, s46
	s_mul_i32 s49, s49, s46
	s_add_i32 s50, s51, s50
	s_mul_i32 s47, s47, s46
	s_add_i32 s50, s50, s49
	s_mul_hi_u32 s51, s43, s47
	s_mul_i32 s52, s43, s47
	s_mul_hi_u32 s47, s46, s47
	s_mul_hi_u32 s53, s46, s50
	s_mul_i32 s46, s46, s50
	s_mul_hi_u32 s49, s43, s50
	s_add_u32 s46, s47, s46
	s_addc_u32 s47, 0, s53
	s_add_u32 s46, s46, s52
	s_mul_i32 s50, s43, s50
	s_addc_u32 s46, s47, s51
	s_addc_u32 s47, s49, 0
	s_add_u32 s46, s46, s50
	s_addc_u32 s47, 0, s47
	v_add_co_u32 v0, s46, v0, s46
	s_cmp_lg_u32 s46, 0
	s_addc_u32 s43, s43, s47
	v_readfirstlane_b32 s46, v0
	s_mul_i32 s49, s28, s43
	s_mul_hi_u32 s47, s28, s43
	s_mul_hi_u32 s50, s29, s43
	s_mul_i32 s43, s29, s43
	s_mul_hi_u32 s51, s28, s46
	s_mul_hi_u32 s52, s29, s46
	s_mul_i32 s46, s29, s46
	s_add_u32 s49, s51, s49
	s_addc_u32 s47, 0, s47
	s_add_u32 s46, s49, s46
	s_addc_u32 s46, s47, s52
	s_addc_u32 s47, s50, 0
	s_add_u32 s46, s46, s43
	s_addc_u32 s47, 0, s47
	s_mul_hi_u32 s43, s44, s46
	s_mul_i32 s50, s44, s47
	s_mul_i32 s51, s44, s46
	s_add_i32 s43, s43, s50
	v_sub_co_u32 v0, s50, s28, s51
	s_mul_i32 s49, s45, s46
	s_add_i32 s43, s43, s49
	v_sub_co_u32 v1, s51, v0, s44
	s_sub_i32 s49, s29, s43
	s_cmp_lg_u32 s50, 0
	s_subb_u32 s49, s49, s45
	s_cmp_lg_u32 s51, 0
	v_readfirstlane_b32 s51, v1
	s_subb_u32 s49, s49, 0
	s_cmp_ge_u32 s49, s45
	s_cselect_b32 s52, -1, 0
	s_cmp_ge_u32 s51, s44
	s_cselect_b32 s51, -1, 0
	s_cmp_eq_u32 s49, s45
	s_cselect_b32 s49, s51, s52
	s_add_u32 s51, s46, 1
	s_addc_u32 s52, s47, 0
	s_add_u32 s53, s46, 2
	s_addc_u32 s54, s47, 0
	s_cmp_lg_u32 s49, 0
	s_cselect_b32 s49, s53, s51
	s_cselect_b32 s51, s54, s52
	s_cmp_lg_u32 s50, 0
	v_readfirstlane_b32 s50, v0
	s_subb_u32 s43, s29, s43
	s_cmp_ge_u32 s43, s45
	s_cselect_b32 s52, -1, 0
	s_cmp_ge_u32 s50, s44
	s_cselect_b32 s50, -1, 0
	s_cmp_eq_u32 s43, s45
	s_cselect_b32 s43, s50, s52
	s_cmp_lg_u32 s43, 0
	s_mov_b32 s43, 0
	s_cselect_b32 s47, s51, s47
	s_cselect_b32 s46, s49, s46
.LBB0_6:                                ;   in Loop: Header=BB0_4 Depth=1
	s_andn2_b32 vcc_lo, exec_lo, s43
	s_cbranch_vccnz .LBB0_8
; %bb.7:                                ;   in Loop: Header=BB0_4 Depth=1
	v_cvt_f32_u32_e32 v0, s44
	s_sub_i32 s46, 0, s44
	v_rcp_iflag_f32_e32 v0, v0
	v_mul_f32_e32 v0, 0x4f7ffffe, v0
	v_cvt_u32_f32_e32 v0, v0
	v_readfirstlane_b32 s43, v0
	s_mul_i32 s46, s46, s43
	s_mul_hi_u32 s46, s43, s46
	s_add_i32 s43, s43, s46
	s_mul_hi_u32 s43, s28, s43
	s_mul_i32 s46, s43, s44
	s_add_i32 s47, s43, 1
	s_sub_i32 s46, s28, s46
	s_sub_i32 s49, s46, s44
	s_cmp_ge_u32 s46, s44
	s_cselect_b32 s43, s47, s43
	s_cselect_b32 s46, s49, s46
	s_add_i32 s47, s43, 1
	s_cmp_ge_u32 s46, s44
	s_cselect_b32 s46, s47, s43
	s_mov_b32 s47, s42
.LBB0_8:                                ;   in Loop: Header=BB0_4 Depth=1
	s_load_dwordx2 s[50:51], s[38:39], 0x0
	s_load_dwordx2 s[52:53], s[4:5], 0x0
	s_mul_i32 s37, s44, s37
	s_mul_hi_u32 s43, s44, s36
	s_mul_i32 s49, s45, s36
	s_mul_i32 s45, s46, s45
	s_mul_hi_u32 s54, s46, s44
	s_mul_i32 s55, s47, s44
	s_add_i32 s37, s43, s37
	s_add_i32 s43, s54, s45
	s_mul_i32 s56, s46, s44
	s_add_i32 s37, s37, s49
	s_add_i32 s43, s43, s55
	s_sub_u32 s28, s28, s56
	s_subb_u32 s29, s29, s43
	s_mul_i32 s36, s44, s36
	s_waitcnt lgkmcnt(0)
	s_mul_i32 s43, s50, s29
	s_mul_hi_u32 s45, s50, s28
	s_mul_i32 s49, s51, s28
	s_add_i32 s43, s45, s43
	s_mul_i32 s50, s50, s28
	s_mul_i32 s29, s52, s29
	s_mul_hi_u32 s45, s52, s28
	s_add_i32 s43, s43, s49
	s_add_u32 s19, s50, s19
	s_addc_u32 s48, s43, s48
	s_add_i32 s29, s45, s29
	s_mul_i32 s43, s53, s28
	s_mul_i32 s28, s52, s28
	s_add_i32 s29, s29, s43
	s_add_u32 s26, s28, s26
	s_addc_u32 s27, s29, s27
	s_add_u32 s40, s40, 1
	s_addc_u32 s41, s41, 0
	s_add_u32 s4, s4, 8
	v_cmp_ge_u64_e64 s28, s[40:41], s[14:15]
	s_addc_u32 s5, s5, 0
	s_add_u32 s38, s38, 8
	s_addc_u32 s39, s39, 0
	s_add_u32 s20, s20, 8
	s_addc_u32 s21, s21, 0
	s_and_b32 vcc_lo, exec_lo, s28
	s_cbranch_vccnz .LBB0_10
; %bb.9:                                ;   in Loop: Header=BB0_4 Depth=1
	s_mov_b64 s[28:29], s[46:47]
	s_branch .LBB0_4
.LBB0_10:
	v_cmp_lt_u64_e64 s4, s[6:7], s[36:37]
	s_mov_b64 s[28:29], 0
	s_and_b32 vcc_lo, exec_lo, s4
	s_cbranch_vccnz .LBB0_12
; %bb.11:
	v_cvt_f32_u32_e32 v0, s36
	s_sub_i32 s5, 0, s36
	v_rcp_iflag_f32_e32 v0, v0
	v_mul_f32_e32 v0, 0x4f7ffffe, v0
	v_cvt_u32_f32_e32 v0, v0
	v_readfirstlane_b32 s4, v0
	s_mul_i32 s5, s5, s4
	s_mul_hi_u32 s5, s4, s5
	s_add_i32 s4, s4, s5
	s_mul_hi_u32 s4, s6, s4
	s_mul_i32 s5, s4, s36
	s_sub_i32 s5, s6, s5
	s_add_i32 s6, s4, 1
	s_sub_i32 s7, s5, s36
	s_cmp_ge_u32 s5, s36
	s_cselect_b32 s4, s6, s4
	s_cselect_b32 s5, s7, s5
	s_add_i32 s6, s4, 1
	s_cmp_ge_u32 s5, s36
	s_cselect_b32 s28, s6, s4
.LBB0_12:
	v_mul_u32_u24_e32 v0, 0x2493, v248
	s_lshl_b64 s[14:15], s[14:15], 3
	s_mov_b32 s7, 0x31014000
	s_add_u32 s4, s22, s14
	s_addc_u32 s5, s23, s15
	v_lshrrev_b32_e32 v0, 16, v0
	s_load_dword s4, s[4:5], 0x0
	s_mov_b32 s6, -2
	s_mov_b32 s50, 0x5d8e7cdc
	s_mov_b32 s56, 0x2a9d6da3
	v_mul_lo_u16 v1, v0, 7
	v_add_nc_u32_e32 v2, 17, v0
	v_add_nc_u32_e32 v6, 34, v0
	;; [unrolled: 1-line block ×4, first 2 shown]
	v_sub_nc_u16 v1, v248, v1
	v_mul_lo_u32 v2, s16, v2
	v_add_nc_u32_e32 v11, 0xaa, v0
	v_mul_lo_u32 v7, s16, v7
	v_mul_lo_u32 v8, s16, v8
	v_and_b32_e32 v249, 0xffff, v1
	v_mul_lo_u32 v1, s16, v0
	v_add_nc_u32_e32 v12, 0xbb, v0
	v_add_nc_u32_e32 v29, 0xcc, v0
	;; [unrolled: 1-line block ×3, first 2 shown]
	v_add_co_u32 v61, s5, s33, v249
	s_waitcnt lgkmcnt(0)
	s_mul_i32 s4, s4, s28
	v_add_co_ci_u32_e64 v62, null, s17, 0, s5
	v_mul_lo_u32 v9, s18, v249
	s_add_i32 s18, s4, s19
	s_add_u32 s4, s33, 7
	s_addc_u32 s5, s17, 0
	v_cmp_gt_u64_e32 vcc_lo, s[34:35], v[61:62]
	v_cmp_le_u64_e64 s5, s[4:5], s[34:35]
	s_mov_b32 s4, s8
	s_lshl_b32 s8, s18, 4
	v_add_lshl_u32 v1, v9, v1, 4
	v_add_lshl_u32 v2, v9, v2, 4
	v_add_lshl_u32 v7, v9, v7, 4
	s_or_b32 vcc_lo, s5, vcc_lo
	s_mov_b32 s5, s9
	v_cndmask_b32_e32 v1, -1, v1, vcc_lo
	v_cndmask_b32_e32 v5, -1, v2, vcc_lo
	s_clause 0x1
	buffer_load_dwordx4 v[1:4], v1, s[4:7], s8 offen
	buffer_load_dwordx4 v[13:16], v5, s[4:7], s8 offen
	v_mul_lo_u32 v5, s16, v6
	v_add_nc_u32_e32 v6, 51, v0
	v_add_lshl_u32 v8, v9, v8, 4
	v_cndmask_b32_e32 v7, -1, v7, vcc_lo
	v_add_nc_u32_e32 v31, 0xee, v0
	v_add_nc_u32_e32 v33, 0x110, v0
	;; [unrolled: 1-line block ×3, first 2 shown]
	v_cndmask_b32_e32 v8, -1, v8, vcc_lo
	v_add_lshl_u32 v5, v9, v5, 4
	s_mov_b32 s60, 0x7c9e640b
	s_mov_b32 s54, 0xeb564b22
	s_mov_b32 s36, 0x923c349f
	s_mov_b32 s38, 0x6c9a05f6
	v_cndmask_b32_e32 v5, -1, v5, vcc_lo
	s_mov_b32 s40, 0x4363dd80
	s_mov_b32 s44, 0xacd6c6b4
	;; [unrolled: 1-line block ×4, first 2 shown]
	buffer_load_dwordx4 v[17:20], v5, s[4:7], s8 offen
	v_mul_lo_u32 v5, s16, v6
	v_add_nc_u32_e32 v6, 0x44, v0
	s_mov_b32 s61, 0xbfeca52d
	s_mov_b32 s55, 0xbfefdd0d
	;; [unrolled: 1-line block ×6, first 2 shown]
	v_add_lshl_u32 v5, v9, v5, 4
	s_mov_b32 s20, 0x3259b75e
	s_mov_b32 s22, 0xc61f0d01
	;; [unrolled: 1-line block ×4, first 2 shown]
	v_cndmask_b32_e32 v5, -1, v5, vcc_lo
	s_mov_b32 s34, 0x75d4884
	s_mov_b32 s18, 0x6ed5f1bb
	;; [unrolled: 1-line block ×4, first 2 shown]
	buffer_load_dwordx4 v[21:24], v5, s[4:7], s8 offen
	v_mul_lo_u32 v5, s16, v6
	v_add_nc_u32_e32 v6, 0x55, v0
	s_mov_b32 s53, 0x3fd71e95
	s_mov_b32 s43, 0x3fefdd0d
	;; [unrolled: 1-line block ×4, first 2 shown]
	v_mul_lo_u32 v10, s16, v6
	v_add_nc_u32_e32 v6, 0x77, v0
	v_add_lshl_u32 v5, v9, v5, 4
	s_mov_b32 s52, s50
	s_mov_b32 s42, s54
	;; [unrolled: 1-line block ×3, first 2 shown]
	v_mul_lo_u32 v6, s16, v6
	v_cndmask_b32_e32 v5, -1, v5, vcc_lo
	v_add_lshl_u32 v10, v9, v10, 4
	s_mov_b32 s64, s40
	s_mov_b32 s49, 0x3fe58eea
	;; [unrolled: 1-line block ×3, first 2 shown]
	buffer_load_dwordx4 v[25:28], v5, s[4:7], s8 offen
	v_cndmask_b32_e32 v10, -1, v10, vcc_lo
	v_add_lshl_u32 v6, v9, v6, 4
	s_mov_b32 s59, 0x3fe9895b
	s_mov_b32 s67, 0x3fc7851a
	;; [unrolled: 1-line block ×3, first 2 shown]
	buffer_load_dwordx4 v[78:81], v10, s[4:7], s8 offen
	v_add_nc_u32_e32 v5, 0x66, v0
	v_mul_lo_u32 v10, s16, v11
	v_cndmask_b32_e32 v6, -1, v6, vcc_lo
	v_mul_lo_u32 v11, s16, v12
	v_mul_lo_u32 v12, s16, v29
	v_mul_lo_u32 v5, s16, v5
	v_mul_lo_u32 v29, s16, v30
	v_mul_lo_u32 v30, s16, v31
	v_mul_lo_u32 v31, s16, v33
	v_add_lshl_u32 v10, v9, v10, 4
	s_mov_b32 s46, s60
	v_add_lshl_u32 v11, v9, v11, 4
	s_mov_b32 s58, s38
	v_add_lshl_u32 v5, v9, v5, 4
	v_cndmask_b32_e32 v10, -1, v10, vcc_lo
	s_mov_b32 s66, s44
	v_cndmask_b32_e32 v5, -1, v5, vcc_lo
	s_clause 0x4
	buffer_load_dwordx4 v[84:87], v7, s[4:7], s8 offen
	buffer_load_dwordx4 v[88:91], v8, s[4:7], s8 offen
	;; [unrolled: 1-line block ×5, first 2 shown]
	v_add_lshl_u32 v5, v9, v12, 4
	v_add_lshl_u32 v7, v9, v31, 4
	v_cndmask_b32_e32 v8, -1, v11, vcc_lo
	v_add_lshl_u32 v6, v9, v29, 4
	v_mul_lo_u32 v11, s16, v32
	v_cndmask_b32_e32 v10, -1, v5, vcc_lo
	v_cndmask_b32_e32 v5, -1, v7, vcc_lo
	buffer_load_dwordx4 v[41:44], v8, s[4:7], s8 offen
	v_cndmask_b32_e32 v12, -1, v6, vcc_lo
	s_clause 0x1
	buffer_load_dwordx4 v[5:8], v5, s[4:7], s8 offen
	buffer_load_dwordx4 v[37:40], v10, s[4:7], s8 offen
	v_add_lshl_u32 v10, v9, v30, 4
	v_add_lshl_u32 v9, v9, v11, 4
	buffer_load_dwordx4 v[33:36], v12, s[4:7], s8 offen
	s_mov_b32 s16, 0x910ea3b9
	s_mov_b32 s17, 0xbfeb34fa
	v_cndmask_b32_e32 v10, -1, v10, vcc_lo
	v_cndmask_b32_e32 v9, -1, v9, vcc_lo
	s_clause 0x1
	buffer_load_dwordx4 v[29:32], v10, s[4:7], s8 offen
	buffer_load_dwordx4 v[9:12], v9, s[4:7], s8 offen
	s_mov_b32 s4, 0x370991
	s_mov_b32 s5, 0x3fedd6d0
	;; [unrolled: 1-line block ×6, first 2 shown]
	s_waitcnt vmcnt(15)
	v_add_f64 v[47:48], v[3:4], v[15:16]
	v_add_f64 v[45:46], v[1:2], v[13:14]
	s_waitcnt vmcnt(14)
	v_add_f64 v[47:48], v[47:48], v[19:20]
	v_add_f64 v[45:46], v[45:46], v[17:18]
	;; [unrolled: 3-line block ×4, first 2 shown]
	s_waitcnt vmcnt(9)
	v_add_f64 v[53:54], v[86:87], v[90:91]
	v_add_f64 v[55:56], v[86:87], -v[90:91]
	s_waitcnt vmcnt(6)
	v_add_f64 v[62:63], v[94:95], v[184:185]
	v_add_f64 v[64:65], v[94:95], -v[184:185]
	v_add_f64 v[47:48], v[47:48], v[80:81]
	v_add_f64 v[49:50], v[45:46], v[78:79]
	v_add_f64 v[51:52], v[92:93], -v[182:183]
	v_add_f64 v[45:46], v[84:85], v[88:89]
	s_waitcnt vmcnt(5)
	v_add_f64 v[70:71], v[68:69], v[43:44]
	v_add_f64 v[72:73], v[68:69], -v[43:44]
	v_add_f64 v[57:58], v[66:67], v[41:42]
	s_waitcnt vmcnt(4)
	v_add_f64 v[98:99], v[15:16], -v[7:8]
	v_add_f64 v[100:101], v[15:16], v[7:8]
	v_add_f64 v[136:137], v[13:14], v[5:6]
	v_add_f64 v[134:135], v[13:14], -v[5:6]
	v_add_f64 v[59:60], v[66:67], -v[41:42]
	s_waitcnt vmcnt(3)
	v_add_f64 v[76:77], v[80:81], v[39:40]
	s_waitcnt vmcnt(2)
	v_add_f64 v[74:75], v[25:26], v[33:34]
	v_add_f64 v[25:26], v[25:26], -v[33:34]
	s_waitcnt vmcnt(1)
	v_add_f64 v[15:16], v[21:22], v[29:30]
	s_waitcnt vmcnt(0)
	v_add_f64 v[168:169], v[19:20], v[11:12]
	v_add_f64 v[96:97], v[47:48], v[68:69]
	;; [unrolled: 1-line block ×4, first 2 shown]
	v_add_f64 v[176:177], v[19:20], -v[11:12]
	v_add_f64 v[66:67], v[78:79], v[37:38]
	v_add_f64 v[68:69], v[78:79], -v[37:38]
	v_add_f64 v[78:79], v[80:81], -v[39:40]
	v_add_f64 v[110:111], v[17:18], v[9:10]
	v_add_f64 v[112:113], v[17:18], -v[9:10]
	v_mul_f64 v[174:175], v[98:99], s[50:51]
	v_mul_f64 v[172:173], v[98:99], s[56:57]
	;; [unrolled: 1-line block ×13, first 2 shown]
	v_add_f64 v[94:95], v[96:97], v[94:95]
	v_add_f64 v[92:93], v[82:83], v[92:93]
	;; [unrolled: 1-line block ×3, first 2 shown]
	v_add_f64 v[23:24], v[23:24], -v[31:32]
	v_mul_f64 v[146:147], v[100:101], s[18:19]
	v_mul_f64 v[142:143], v[100:101], s[16:17]
	;; [unrolled: 1-line block ×10, first 2 shown]
	v_fma_f64 v[210:211], v[136:137], s[4:5], v[174:175]
	v_fma_f64 v[174:175], v[136:137], s[4:5], -v[174:175]
	v_fma_f64 v[212:213], v[136:137], s[34:35], v[172:173]
	v_fma_f64 v[172:173], v[136:137], s[34:35], -v[172:173]
	;; [unrolled: 2-line block ×4, first 2 shown]
	v_add_f64 v[94:95], v[94:95], v[86:87]
	v_add_f64 v[98:99], v[92:93], v[84:85]
	v_fma_f64 v[218:219], v[136:137], s[22:23], v[164:165]
	v_fma_f64 v[164:165], v[136:137], s[22:23], -v[164:165]
	v_fma_f64 v[220:221], v[136:137], s[8:9], v[158:159]
	v_fma_f64 v[226:227], v[134:135], s[42:43], v[150:151]
	;; [unrolled: 1-line block ×5, first 2 shown]
	v_add_f64 v[80:81], v[27:28], v[35:36]
	v_add_f64 v[27:28], v[27:28], -v[35:36]
	v_add_f64 v[21:22], v[21:22], -v[29:30]
	v_mul_f64 v[118:119], v[23:24], s[60:61]
	v_mul_f64 v[120:121], v[82:83], s[6:7]
	;; [unrolled: 1-line block ×7, first 2 shown]
	v_fma_f64 v[222:223], v[134:135], s[48:49], v[156:157]
	v_fma_f64 v[156:157], v[134:135], s[56:57], v[156:157]
	;; [unrolled: 1-line block ×3, first 2 shown]
	v_add_f64 v[186:187], v[94:95], v[90:91]
	v_add_f64 v[132:133], v[98:99], v[88:89]
	v_fma_f64 v[154:155], v[134:135], s[60:61], v[154:155]
	v_fma_f64 v[230:231], v[134:135], s[58:59], v[146:147]
	;; [unrolled: 1-line block ×5, first 2 shown]
	v_fma_f64 v[188:189], v[110:111], s[20:21], -v[188:189]
	v_fma_f64 v[238:239], v[110:111], s[18:19], v[192:193]
	v_fma_f64 v[244:245], v[112:113], s[66:67], v[196:197]
	;; [unrolled: 1-line block ×4, first 2 shown]
	v_add_f64 v[210:211], v[1:2], v[210:211]
	v_add_f64 v[172:173], v[1:2], v[172:173]
	;; [unrolled: 1-line block ×7, first 2 shown]
	v_mul_f64 v[138:139], v[23:24], s[66:67]
	v_mul_f64 v[144:145], v[82:83], s[8:9]
	v_fma_f64 v[236:237], v[112:113], s[42:43], v[190:191]
	v_add_f64 v[184:185], v[186:187], v[184:185]
	v_add_f64 v[182:183], v[132:133], v[182:183]
	v_mul_f64 v[186:187], v[176:177], s[44:45]
	v_fma_f64 v[190:191], v[112:113], s[54:55], v[190:191]
	v_fma_f64 v[240:241], v[112:113], s[58:59], v[194:195]
	v_fma_f64 v[192:193], v[110:111], s[18:19], -v[192:193]
	v_fma_f64 v[194:195], v[112:113], s[38:39], v[194:195]
	v_add_f64 v[174:175], v[1:2], v[174:175]
	v_add_f64 v[222:223], v[3:4], v[222:223]
	;; [unrolled: 1-line block ×14, first 2 shown]
	v_mul_f64 v[238:239], v[82:83], s[22:23]
	v_add_f64 v[43:44], v[184:185], v[43:44]
	v_add_f64 v[41:42], v[182:183], v[41:42]
	v_fma_f64 v[182:183], v[136:137], s[18:19], v[162:163]
	v_fma_f64 v[162:163], v[136:137], s[18:19], -v[162:163]
	v_fma_f64 v[184:185], v[136:137], s[16:17], v[160:161]
	v_fma_f64 v[160:161], v[136:137], s[16:17], -v[160:161]
	v_fma_f64 v[136:137], v[136:137], s[8:9], -v[158:159]
	v_fma_f64 v[158:159], v[134:135], s[52:53], v[152:153]
	v_fma_f64 v[152:153], v[134:135], s[50:51], v[152:153]
	v_fma_f64 v[242:243], v[110:111], s[8:9], v[186:187]
	v_fma_f64 v[186:187], v[110:111], s[8:9], -v[186:187]
	v_add_f64 v[150:151], v[196:197], v[150:151]
	v_fma_f64 v[196:197], v[21:22], s[46:47], v[120:121]
	v_fma_f64 v[120:121], v[21:22], s[60:61], v[120:121]
	v_mul_f64 v[108:109], v[80:81], s[20:21]
	v_mul_f64 v[122:123], v[27:28], s[44:45]
	v_add_f64 v[212:213], v[1:2], v[212:213]
	v_add_f64 v[216:217], v[1:2], v[216:217]
	;; [unrolled: 1-line block ×4, first 2 shown]
	v_mul_f64 v[190:191], v[23:24], s[62:63]
	v_add_f64 v[224:225], v[240:241], v[224:225]
	v_add_f64 v[39:40], v[43:44], v[39:40]
	;; [unrolled: 1-line block ×3, first 2 shown]
	v_fma_f64 v[41:42], v[134:135], s[40:41], v[142:143]
	v_fma_f64 v[43:44], v[134:135], s[66:67], v[140:141]
	;; [unrolled: 1-line block ×6, first 2 shown]
	v_add_f64 v[158:159], v[3:4], v[158:159]
	v_add_f64 v[152:153], v[3:4], v[152:153]
	v_fma_f64 v[178:179], v[110:111], s[34:35], -v[178:179]
	v_add_f64 v[162:163], v[1:2], v[162:163]
	v_add_f64 v[166:167], v[186:187], v[166:167]
	v_fma_f64 v[186:187], v[15:16], s[6:7], v[118:119]
	v_add_f64 v[182:183], v[1:2], v[182:183]
	v_add_f64 v[184:185], v[1:2], v[184:185]
	;; [unrolled: 1-line block ×4, first 2 shown]
	v_fma_f64 v[1:2], v[112:113], s[36:37], v[204:205]
	v_add_f64 v[170:171], v[192:193], v[170:171]
	v_add_f64 v[154:155], v[194:195], v[154:155]
	;; [unrolled: 1-line block ×4, first 2 shown]
	v_fma_f64 v[39:40], v[110:111], s[16:17], -v[198:199]
	v_fma_f64 v[198:199], v[112:113], s[64:65], v[200:201]
	v_add_f64 v[33:34], v[37:38], v[33:34]
	v_fma_f64 v[37:38], v[112:113], s[40:41], v[200:201]
	v_fma_f64 v[200:201], v[110:111], s[22:23], v[202:203]
	v_add_f64 v[41:42], v[3:4], v[41:42]
	v_add_f64 v[43:44], v[3:4], v[43:44]
	;; [unrolled: 1-line block ×3, first 2 shown]
	v_fma_f64 v[3:4], v[110:111], s[22:23], -v[202:203]
	v_fma_f64 v[202:203], v[112:113], s[62:63], v[204:205]
	v_add_f64 v[140:141], v[140:141], v[210:211]
	v_add_f64 v[142:143], v[142:143], v[158:159]
	v_add_f64 v[152:153], v[180:181], v[152:153]
	v_add_f64 v[174:175], v[178:179], v[174:175]
	v_add_f64 v[218:219], v[246:247], v[218:219]
	v_fma_f64 v[118:119], v[15:16], s[6:7], -v[118:119]
	v_mul_f64 v[106:107], v[27:28], s[54:55]
	v_mul_f64 v[128:129], v[82:83], s[18:19]
	;; [unrolled: 1-line block ×4, first 2 shown]
	v_add_f64 v[216:217], v[242:243], v[216:217]
	v_add_f64 v[1:2], v[1:2], v[230:231]
	;; [unrolled: 1-line block ×3, first 2 shown]
	v_fma_f64 v[164:165], v[15:16], s[18:19], v[126:127]
	v_add_f64 v[148:149], v[198:199], v[148:149]
	v_mul_f64 v[198:199], v[23:24], s[48:49]
	v_fma_f64 v[126:127], v[15:16], s[18:19], -v[126:127]
	v_add_f64 v[182:183], v[200:201], v[182:183]
	v_mul_f64 v[96:97], v[76:77], s[22:23]
	v_mul_f64 v[124:125], v[80:81], s[8:9]
	v_add_f64 v[162:163], v[3:4], v[162:163]
	v_fma_f64 v[3:4], v[15:16], s[8:9], v[138:139]
	v_add_f64 v[146:147], v[202:203], v[146:147]
	v_mul_f64 v[202:203], v[23:24], s[50:51]
	v_add_f64 v[140:141], v[186:187], v[140:141]
	v_fma_f64 v[186:187], v[21:22], s[44:45], v[144:145]
	v_add_f64 v[142:143], v[196:197], v[142:143]
	v_mul_f64 v[196:197], v[82:83], s[4:5]
	v_fma_f64 v[138:139], v[15:16], s[8:9], -v[138:139]
	v_fma_f64 v[144:145], v[21:22], s[66:67], v[144:145]
	v_add_f64 v[120:121], v[120:121], v[152:153]
	v_fma_f64 v[152:153], v[21:22], s[36:37], v[238:239]
	v_add_f64 v[118:119], v[118:119], v[174:175]
	v_fma_f64 v[174:175], v[15:16], s[22:23], v[190:191]
	v_mul_f64 v[114:115], v[78:79], s[64:65]
	v_mul_f64 v[206:207], v[176:177], s[46:47]
	;; [unrolled: 1-line block ×4, first 2 shown]
	v_add_f64 v[126:127], v[126:127], v[172:173]
	v_fma_f64 v[172:173], v[15:16], s[34:35], v[198:199]
	v_mul_f64 v[168:169], v[168:169], s[4:5]
	v_add_f64 v[212:213], v[234:235], v[212:213]
	v_mul_f64 v[240:241], v[27:28], s[52:53]
	v_fma_f64 v[200:201], v[21:22], s[58:59], v[128:129]
	v_mul_f64 v[230:231], v[82:83], s[34:35]
	v_fma_f64 v[128:129], v[21:22], s[38:39], v[128:129]
	v_fma_f64 v[190:191], v[15:16], s[22:23], -v[190:191]
	v_add_f64 v[186:187], v[186:187], v[224:225]
	v_mul_f64 v[224:225], v[27:28], s[60:61]
	v_fma_f64 v[238:239], v[21:22], s[62:63], v[238:239]
	v_add_f64 v[138:139], v[138:139], v[170:171]
	v_fma_f64 v[170:171], v[15:16], s[4:5], v[202:203]
	v_add_f64 v[144:145], v[144:145], v[154:155]
	;; [unrolled: 2-line block ×3, first 2 shown]
	v_fma_f64 v[226:227], v[25:26], s[42:43], v[108:109]
	v_fma_f64 v[108:109], v[25:26], s[54:55], v[108:109]
	v_fma_f64 v[198:199], v[15:16], s[34:35], -v[198:199]
	v_add_f64 v[174:175], v[174:175], v[216:217]
	v_fma_f64 v[216:217], v[74:75], s[20:21], v[106:107]
	v_fma_f64 v[106:107], v[74:75], s[20:21], -v[106:107]
	v_add_f64 v[172:173], v[172:173], v[218:219]
	v_fma_f64 v[218:219], v[74:75], s[8:9], v[122:123]
	v_fma_f64 v[122:123], v[74:75], s[8:9], -v[122:123]
	v_mul_f64 v[132:133], v[80:81], s[22:23]
	v_mul_f64 v[92:93], v[78:79], s[36:37]
	v_fma_f64 v[204:205], v[110:111], s[6:7], v[206:207]
	v_add_f64 v[29:30], v[33:34], v[29:30]
	v_add_f64 v[31:32], v[35:36], v[31:32]
	v_fma_f64 v[33:34], v[112:113], s[60:61], v[208:209]
	v_fma_f64 v[35:36], v[110:111], s[4:5], v[176:177]
	v_fma_f64 v[176:177], v[110:111], s[4:5], -v[176:177]
	v_fma_f64 v[110:111], v[110:111], s[6:7], -v[206:207]
	v_add_f64 v[170:171], v[170:171], v[182:183]
	v_fma_f64 v[182:183], v[74:75], s[22:23], v[130:131]
	v_add_f64 v[1:2], v[154:155], v[1:2]
	v_mul_f64 v[154:155], v[27:28], s[40:41]
	v_fma_f64 v[130:131], v[74:75], s[22:23], -v[130:131]
	v_add_f64 v[108:109], v[108:109], v[120:121]
	v_fma_f64 v[120:121], v[25:26], s[50:51], v[192:193]
	v_fma_f64 v[206:207], v[112:113], s[50:51], v[168:169]
	;; [unrolled: 1-line block ×4, first 2 shown]
	v_mul_f64 v[208:209], v[78:79], s[48:49]
	v_add_f64 v[222:223], v[236:237], v[222:223]
	v_add_f64 v[122:123], v[122:123], v[126:127]
	v_fma_f64 v[126:127], v[74:75], s[6:7], v[224:225]
	v_mul_f64 v[194:195], v[78:79], s[60:61]
	v_add_f64 v[37:38], v[37:38], v[228:229]
	v_add_f64 v[164:165], v[164:165], v[212:213]
	;; [unrolled: 1-line block ×3, first 2 shown]
	v_fma_f64 v[156:157], v[21:22], s[56:57], v[230:231]
	v_add_f64 v[3:4], v[3:4], v[214:215]
	v_fma_f64 v[230:231], v[21:22], s[48:49], v[230:231]
	v_add_f64 v[166:167], v[190:191], v[166:167]
	v_mul_f64 v[190:191], v[80:81], s[6:7]
	v_add_f64 v[150:151], v[238:239], v[150:151]
	v_mul_f64 v[238:239], v[78:79], s[44:45]
	v_add_f64 v[39:40], v[198:199], v[39:40]
	v_fma_f64 v[198:199], v[25:26], s[66:67], v[124:125]
	v_fma_f64 v[124:125], v[25:26], s[44:45], v[124:125]
	v_add_f64 v[106:107], v[106:107], v[118:119]
	v_fma_f64 v[118:119], v[74:75], s[4:5], v[240:241]
	v_fma_f64 v[224:225], v[74:75], s[6:7], -v[224:225]
	v_add_f64 v[130:131], v[130:131], v[138:139]
	v_fma_f64 v[138:139], v[74:75], s[16:17], v[154:155]
	v_add_f64 v[120:121], v[120:121], v[152:153]
	v_fma_f64 v[152:153], v[68:69], s[62:63], v[96:97]
	v_fma_f64 v[96:97], v[68:69], s[36:37], v[96:97]
	v_add_f64 v[126:127], v[126:127], v[172:173]
	v_fma_f64 v[172:173], v[66:67], s[16:17], v[114:115]
	v_fma_f64 v[114:115], v[66:67], s[16:17], -v[114:115]
	v_add_f64 v[140:141], v[216:217], v[140:141]
	v_fma_f64 v[216:217], v[25:26], s[36:37], v[132:133]
	v_add_f64 v[142:143], v[226:227], v[142:143]
	v_mul_f64 v[226:227], v[80:81], s[16:17]
	v_fma_f64 v[132:133], v[25:26], s[62:63], v[132:133]
	v_fma_f64 v[240:241], v[74:75], s[4:5], -v[240:241]
	v_add_f64 v[47:48], v[84:85], -v[88:89]
	v_mul_f64 v[84:85], v[72:73], s[38:39]
	v_mul_f64 v[116:117], v[76:77], s[16:17]
	;; [unrolled: 1-line block ×4, first 2 shown]
	v_add_f64 v[200:201], v[200:201], v[222:223]
	v_add_f64 v[37:38], v[156:157], v[37:38]
	v_mul_f64 v[156:157], v[76:77], s[8:9]
	v_add_f64 v[148:149], v[230:231], v[148:149]
	v_add_f64 v[164:165], v[218:219], v[164:165]
	v_fma_f64 v[192:193], v[25:26], s[52:53], v[192:193]
	v_add_f64 v[124:125], v[124:125], v[128:129]
	v_fma_f64 v[128:129], v[25:26], s[46:47], v[190:191]
	;; [unrolled: 2-line block ×4, first 2 shown]
	v_add_f64 v[39:40], v[224:225], v[39:40]
	v_add_f64 v[138:139], v[138:139], v[170:171]
	v_fma_f64 v[170:171], v[66:67], s[34:35], v[208:209]
	v_add_f64 v[96:97], v[96:97], v[108:109]
	v_fma_f64 v[108:109], v[66:67], s[6:7], v[194:195]
	;; [unrolled: 2-line block ×3, first 2 shown]
	v_fma_f64 v[238:239], v[66:67], s[8:9], -v[238:239]
	v_mul_f64 v[86:87], v[70:71], s[18:19]
	v_mul_f64 v[210:211], v[76:77], s[34:35]
	v_add_f64 v[132:133], v[132:133], v[144:145]
	v_fma_f64 v[144:145], v[25:26], s[64:65], v[226:227]
	v_add_f64 v[166:167], v[240:241], v[166:167]
	v_fma_f64 v[194:195], v[66:67], s[6:7], -v[194:195]
	v_mul_f64 v[102:103], v[70:71], s[22:23]
	v_mul_f64 v[158:159], v[72:73], s[50:51]
	;; [unrolled: 1-line block ×3, first 2 shown]
	v_add_f64 v[198:199], v[198:199], v[200:201]
	v_add_f64 v[150:151], v[192:193], v[150:151]
	v_mul_f64 v[192:193], v[78:79], s[42:43]
	v_fma_f64 v[92:93], v[66:67], s[22:23], -v[92:93]
	v_add_f64 v[37:38], v[128:129], v[37:38]
	v_fma_f64 v[128:129], v[68:69], s[40:41], v[116:117]
	v_mul_f64 v[224:225], v[76:77], s[20:21]
	v_add_f64 v[148:149], v[190:191], v[148:149]
	v_fma_f64 v[116:117], v[68:69], s[64:65], v[116:117]
	v_add_f64 v[140:141], v[174:175], v[140:141]
	v_fma_f64 v[208:209], v[66:67], s[34:35], -v[208:209]
	v_add_f64 v[164:165], v[172:173], v[164:165]
	v_fma_f64 v[172:173], v[68:69], s[46:47], v[242:243]
	v_add_f64 v[3:4], v[170:171], v[3:4]
	v_fma_f64 v[170:171], v[68:69], s[66:67], v[156:157]
	v_fma_f64 v[156:157], v[68:69], s[44:45], v[156:157]
	v_add_f64 v[108:109], v[108:109], v[118:119]
	v_fma_f64 v[118:119], v[57:58], s[18:19], v[84:85]
	v_add_f64 v[39:40], v[238:239], v[39:40]
	v_fma_f64 v[238:239], v[57:58], s[22:23], v[104:105]
	v_mul_f64 v[178:179], v[70:71], s[4:5]
	v_add_f64 v[186:187], v[216:217], v[186:187]
	v_add_f64 v[1:2], v[144:145], v[1:2]
	v_fma_f64 v[144:145], v[68:69], s[56:57], v[210:211]
	v_add_f64 v[142:143], v[152:153], v[142:143]
	v_add_f64 v[166:167], v[194:195], v[166:167]
	v_fma_f64 v[194:195], v[59:60], s[58:59], v[86:87]
	v_mul_f64 v[13:14], v[64:65], s[40:41]
	v_mul_f64 v[90:91], v[64:65], s[46:47]
	;; [unrolled: 1-line block ×6, first 2 shown]
	v_fma_f64 v[210:211], v[68:69], s[48:49], v[210:211]
	v_add_f64 v[92:93], v[92:93], v[106:107]
	v_add_f64 v[128:129], v[128:129], v[198:199]
	v_fma_f64 v[242:243], v[68:69], s[60:61], v[242:243]
	v_add_f64 v[116:117], v[116:117], v[124:125]
	v_add_f64 v[130:131], v[208:209], v[130:131]
	v_fma_f64 v[208:209], v[66:67], s[20:21], v[192:193]
	v_add_f64 v[120:121], v[172:173], v[120:121]
	v_fma_f64 v[172:173], v[68:69], s[54:55], v[224:225]
	v_fma_f64 v[84:85], v[57:58], s[18:19], -v[84:85]
	v_add_f64 v[148:149], v[156:157], v[148:149]
	v_fma_f64 v[156:157], v[59:60], s[36:37], v[102:103]
	v_fma_f64 v[104:105], v[57:58], s[22:23], -v[104:105]
	v_fma_f64 v[102:103], v[59:60], s[62:63], v[102:103]
	v_add_f64 v[118:119], v[118:119], v[140:141]
	v_fma_f64 v[140:141], v[57:58], s[4:5], v[158:159]
	v_add_f64 v[164:165], v[238:239], v[164:165]
	v_fma_f64 v[238:239], v[57:58], s[16:17], v[244:245]
	v_mul_f64 v[180:181], v[64:65], s[54:55]
	v_add_f64 v[144:145], v[144:145], v[186:187]
	v_add_f64 v[142:143], v[194:195], v[142:143]
	v_fma_f64 v[194:195], v[59:60], s[52:53], v[178:179]
	v_mul_f64 v[17:18], v[62:63], s[16:17]
	v_mul_f64 v[19:20], v[55:56], s[44:45]
	v_mul_f64 v[98:99], v[55:56], s[52:53]
	v_mul_f64 v[100:101], v[53:54], s[4:5]
	v_mul_f64 v[234:235], v[62:63], s[20:21]
	v_mul_f64 v[246:247], v[70:71], s[16:17]
	v_mul_f64 v[228:229], v[64:65], s[58:59]
	v_mul_f64 v[200:201], v[64:65], s[50:51]
	v_mul_f64 v[182:183], v[62:63], s[4:5]
	v_add_f64 v[132:133], v[210:211], v[132:133]
	v_add_f64 v[150:151], v[242:243], v[150:151]
	v_fma_f64 v[242:243], v[49:50], s[16:17], v[13:14]
	v_add_f64 v[37:38], v[170:171], v[37:38]
	v_fma_f64 v[86:87], v[59:60], s[38:39], v[86:87]
	v_add_f64 v[138:139], v[208:209], v[138:139]
	v_fma_f64 v[13:14], v[49:50], s[16:17], -v[13:14]
	v_add_f64 v[1:2], v[172:173], v[1:2]
	v_fma_f64 v[172:173], v[49:50], s[6:7], v[90:91]
	v_add_f64 v[84:85], v[84:85], v[92:93]
	v_fma_f64 v[92:93], v[51:52], s[60:61], v[94:95]
	v_fma_f64 v[158:159], v[57:58], s[4:5], -v[158:159]
	v_fma_f64 v[178:179], v[59:60], s[50:51], v[178:179]
	v_add_f64 v[128:129], v[156:157], v[128:129]
	v_add_f64 v[104:105], v[104:105], v[114:115]
	v_fma_f64 v[90:91], v[49:50], s[6:7], -v[90:91]
	v_fma_f64 v[244:245], v[57:58], s[16:17], -v[244:245]
	v_add_f64 v[102:103], v[102:103], v[116:117]
	v_fma_f64 v[116:117], v[57:58], s[20:21], v[230:231]
	v_add_f64 v[3:4], v[140:141], v[3:4]
	v_fma_f64 v[140:141], v[59:60], s[54:55], v[218:219]
	v_fma_f64 v[230:231], v[57:58], s[20:21], -v[230:231]
	v_add_f64 v[108:109], v[238:239], v[108:109]
	v_fma_f64 v[238:239], v[57:58], s[34:35], v[190:191]
	v_mul_f64 v[236:237], v[55:56], s[40:41]
	v_add_f64 v[144:145], v[194:195], v[144:145]
	v_fma_f64 v[194:195], v[49:50], s[20:21], v[180:181]
	v_mul_f64 v[174:175], v[70:71], s[34:35]
	v_fma_f64 v[218:219], v[59:60], s[42:43], v[218:219]
	v_mul_f64 v[88:89], v[53:54], s[8:9]
	v_mul_f64 v[188:189], v[53:54], s[16:17]
	;; [unrolled: 1-line block ×4, first 2 shown]
	v_add_f64 v[122:123], v[122:123], v[126:127]
	v_fma_f64 v[126:127], v[51:52], s[64:65], v[17:18]
	v_fma_f64 v[170:171], v[45:46], s[8:9], v[19:20]
	;; [unrolled: 1-line block ×3, first 2 shown]
	v_fma_f64 v[19:20], v[45:46], s[8:9], -v[19:20]
	v_add_f64 v[86:87], v[86:87], v[96:97]
	v_fma_f64 v[96:97], v[45:46], s[4:5], v[98:99]
	v_fma_f64 v[156:157], v[59:60], s[64:65], v[246:247]
	;; [unrolled: 1-line block ×4, first 2 shown]
	v_fma_f64 v[98:99], v[45:46], s[4:5], -v[98:99]
	v_add_f64 v[130:131], v[158:159], v[130:131]
	v_fma_f64 v[158:159], v[51:52], s[42:43], v[234:235]
	v_add_f64 v[132:133], v[178:179], v[132:133]
	v_fma_f64 v[180:181], v[49:50], s[20:21], -v[180:181]
	v_fma_f64 v[234:235], v[51:52], s[54:55], v[234:235]
	v_add_f64 v[166:167], v[244:245], v[166:167]
	v_fma_f64 v[244:245], v[49:50], s[18:19], v[228:229]
	v_add_f64 v[37:38], v[140:141], v[37:38]
	v_fma_f64 v[228:229], v[49:50], s[18:19], -v[228:229]
	v_add_f64 v[39:40], v[230:231], v[39:40]
	v_fma_f64 v[230:231], v[49:50], s[4:5], v[200:201]
	v_add_f64 v[138:139], v[238:239], v[138:139]
	v_fma_f64 v[238:239], v[51:52], s[52:53], v[182:183]
	v_fma_f64 v[200:201], v[49:50], s[4:5], -v[200:201]
	v_add_f64 v[13:14], v[13:14], v[84:85]
	v_add_f64 v[164:165], v[172:173], v[164:165]
	;; [unrolled: 1-line block ×5, first 2 shown]
	v_mul_f64 v[23:24], v[23:24], s[40:41]
	v_mul_f64 v[82:83], v[82:83], s[16:17]
	v_fma_f64 v[178:179], v[45:46], s[16:17], v[236:237]
	v_add_f64 v[104:105], v[194:195], v[3:4]
	v_add_f64 v[148:149], v[218:219], v[148:149]
	v_fma_f64 v[218:219], v[59:60], s[48:49], v[174:175]
	v_add_f64 v[118:119], v[242:243], v[118:119]
	v_fma_f64 v[208:209], v[47:48], s[66:67], v[88:89]
	;; [unrolled: 2-line block ×3, first 2 shown]
	v_add_f64 v[126:127], v[126:127], v[142:143]
	v_fma_f64 v[202:203], v[15:16], s[4:5], -v[202:203]
	v_add_f64 v[128:129], v[158:159], v[144:145]
	v_add_f64 v[144:145], v[29:30], v[9:10]
	;; [unrolled: 1-line block ×14, first 2 shown]
	v_fma_f64 v[11:12], v[21:22], s[50:51], v[196:197]
	v_add_f64 v[37:38], v[204:205], v[184:185]
	v_add_f64 v[33:34], v[33:34], v[232:233]
	v_fma_f64 v[39:40], v[15:16], s[20:21], v[186:187]
	v_fma_f64 v[90:91], v[21:22], s[42:43], v[210:211]
	v_mul_f64 v[92:93], v[27:28], s[58:59]
	v_mul_f64 v[96:97], v[80:81], s[18:19]
	v_add_f64 v[29:30], v[178:179], v[104:105]
	v_add_f64 v[35:36], v[35:36], v[220:221]
	;; [unrolled: 1-line block ×3, first 2 shown]
	v_fma_f64 v[98:99], v[15:16], s[16:17], v[23:24]
	v_fma_f64 v[104:105], v[21:22], s[64:65], v[82:83]
	v_mul_f64 v[27:28], v[27:28], s[48:49]
	v_mul_f64 v[80:81], v[80:81], s[34:35]
	v_add_f64 v[158:159], v[218:219], v[1:2]
	v_add_f64 v[1:2], v[170:171], v[118:119]
	;; [unrolled: 1-line block ×4, first 2 shown]
	v_fma_f64 v[23:24], v[15:16], s[16:17], -v[23:24]
	v_fma_f64 v[82:83], v[21:22], s[40:41], v[82:83]
	v_add_f64 v[110:111], v[110:111], v[160:161]
	v_add_f64 v[41:42], v[112:113], v[41:42]
	v_fma_f64 v[15:16], v[15:16], s[20:21], -v[186:187]
	v_fma_f64 v[21:22], v[21:22], s[54:55], v[210:211]
	v_add_f64 v[3:4], v[208:209], v[126:127]
	v_add_f64 v[31:32], v[156:157], v[128:129]
	;; [unrolled: 1-line block ×4, first 2 shown]
	v_fma_f64 v[126:127], v[74:75], s[16:17], -v[154:155]
	v_fma_f64 v[128:129], v[25:26], s[40:41], v[226:227]
	v_add_f64 v[37:38], v[39:40], v[37:38]
	v_add_f64 v[33:34], v[90:91], v[33:34]
	v_fma_f64 v[39:40], v[74:75], s[18:19], v[92:93]
	v_fma_f64 v[90:91], v[25:26], s[38:39], v[96:97]
	v_mul_f64 v[134:135], v[78:79], s[50:51]
	v_mul_f64 v[136:137], v[76:77], s[4:5]
	v_add_f64 v[35:36], v[98:99], v[35:36]
	v_add_f64 v[43:44], v[104:105], v[43:44]
	v_fma_f64 v[98:99], v[74:75], s[34:35], v[27:28]
	v_fma_f64 v[104:105], v[25:26], s[56:57], v[80:81]
	v_mul_f64 v[78:79], v[78:79], s[38:39]
	v_mul_f64 v[76:77], v[76:77], s[18:19]
	v_add_f64 v[23:24], v[23:24], v[114:115]
	v_add_f64 v[82:83], v[82:83], v[118:119]
	v_fma_f64 v[27:28], v[74:75], s[34:35], -v[27:28]
	v_fma_f64 v[80:81], v[25:26], s[48:49], v[80:81]
	v_add_f64 v[15:16], v[15:16], v[110:111]
	v_add_f64 v[21:22], v[21:22], v[41:42]
	v_fma_f64 v[41:42], v[74:75], s[18:19], -v[92:93]
	v_fma_f64 v[25:26], v[25:26], s[58:59], v[96:97]
	;; [unrolled: 4-line block ×3, first 2 shown]
	v_add_f64 v[37:38], v[39:40], v[37:38]
	v_add_f64 v[33:34], v[90:91], v[33:34]
	v_fma_f64 v[39:40], v[66:67], s[4:5], v[134:135]
	v_fma_f64 v[90:91], v[68:69], s[52:53], v[136:137]
	v_mul_f64 v[110:111], v[72:73], s[44:45]
	v_mul_f64 v[112:113], v[70:71], s[8:9]
	v_add_f64 v[35:36], v[98:99], v[35:36]
	v_add_f64 v[43:44], v[104:105], v[43:44]
	v_fma_f64 v[98:99], v[66:67], s[18:19], v[78:79]
	v_fma_f64 v[104:105], v[68:69], s[58:59], v[76:77]
	v_mul_f64 v[72:73], v[72:73], s[46:47]
	v_mul_f64 v[70:71], v[70:71], s[6:7]
	v_add_f64 v[23:24], v[27:28], v[23:24]
	v_add_f64 v[27:28], v[80:81], v[82:83]
	v_fma_f64 v[78:79], v[66:67], s[18:19], -v[78:79]
	v_fma_f64 v[76:77], v[68:69], s[38:39], v[76:77]
	v_add_f64 v[15:16], v[41:42], v[15:16]
	v_add_f64 v[21:22], v[25:26], v[21:22]
	v_fma_f64 v[25:26], v[66:67], s[4:5], -v[134:135]
	v_fma_f64 v[41:42], v[68:69], s[50:51], v[136:137]
	v_mul_f64 v[212:213], v[62:63], s[18:19]
	v_fma_f64 v[246:247], v[59:60], s[40:41], v[246:247]
	v_mul_f64 v[152:153], v[64:65], s[44:45]
	v_mul_f64 v[106:107], v[62:63], s[8:9]
	v_add_f64 v[66:67], v[92:93], v[74:75]
	v_add_f64 v[11:12], v[96:97], v[11:12]
	v_fma_f64 v[68:69], v[57:58], s[34:35], -v[190:191]
	v_fma_f64 v[74:75], v[59:60], s[56:57], v[174:175]
	v_add_f64 v[37:38], v[39:40], v[37:38]
	v_add_f64 v[33:34], v[90:91], v[33:34]
	v_fma_f64 v[39:40], v[57:58], s[8:9], v[110:111]
	v_fma_f64 v[80:81], v[59:60], s[66:67], v[112:113]
	v_mul_f64 v[82:83], v[64:65], s[48:49]
	v_mul_f64 v[90:91], v[62:63], s[34:35]
	v_add_f64 v[35:36], v[98:99], v[35:36]
	v_add_f64 v[43:44], v[104:105], v[43:44]
	v_fma_f64 v[92:93], v[57:58], s[6:7], v[72:73]
	v_fma_f64 v[96:97], v[59:60], s[60:61], v[70:71]
	v_mul_f64 v[64:65], v[64:65], s[36:37]
	v_mul_f64 v[62:63], v[62:63], s[22:23]
	v_add_f64 v[23:24], v[78:79], v[23:24]
	v_add_f64 v[27:28], v[76:77], v[27:28]
	v_fma_f64 v[72:73], v[57:58], s[6:7], -v[72:73]
	v_fma_f64 v[70:71], v[59:60], s[46:47], v[70:71]
	v_add_f64 v[15:16], v[25:26], v[15:16]
	v_add_f64 v[21:22], v[41:42], v[21:22]
	v_fma_f64 v[25:26], v[57:58], s[8:9], -v[110:111]
	v_fma_f64 v[41:42], v[59:60], s[44:45], v[112:113]
	v_mul_f64 v[222:223], v[55:56], s[48:49]
	v_mul_f64 v[214:215], v[53:54], s[34:35]
	v_add_f64 v[150:151], v[246:247], v[150:151]
	v_fma_f64 v[246:247], v[51:52], s[38:39], v[212:213]
	v_mul_f64 v[216:217], v[55:56], s[38:39]
	v_mul_f64 v[240:241], v[53:54], s[18:19]
	v_add_f64 v[116:117], v[116:117], v[122:123]
	v_mul_f64 v[198:199], v[55:56], s[46:47]
	v_mul_f64 v[124:125], v[53:54], s[6:7]
	v_fma_f64 v[84:85], v[49:50], s[8:9], v[152:153]
	v_fma_f64 v[172:173], v[51:52], s[66:67], v[106:107]
	v_add_f64 v[57:58], v[68:69], v[66:67]
	v_add_f64 v[11:12], v[74:75], v[11:12]
	;; [unrolled: 1-line block ×4, first 2 shown]
	v_fma_f64 v[39:40], v[49:50], s[34:35], v[82:83]
	v_fma_f64 v[68:69], v[51:52], s[56:57], v[90:91]
	v_mul_f64 v[74:75], v[55:56], s[36:37]
	v_mul_f64 v[76:77], v[53:54], s[22:23]
	v_fma_f64 v[59:60], v[49:50], s[8:9], -v[152:153]
	v_add_f64 v[35:36], v[92:93], v[35:36]
	v_add_f64 v[43:44], v[96:97], v[43:44]
	v_fma_f64 v[78:79], v[49:50], s[22:23], v[64:65]
	v_fma_f64 v[80:81], v[51:52], s[62:63], v[62:63]
	v_mul_f64 v[55:56], v[55:56], s[42:43]
	v_mul_f64 v[53:54], v[53:54], s[20:21]
	v_fma_f64 v[66:67], v[51:52], s[44:45], v[106:107]
	v_add_f64 v[23:24], v[72:73], v[23:24]
	v_add_f64 v[27:28], v[70:71], v[27:28]
	v_fma_f64 v[64:65], v[49:50], s[22:23], -v[64:65]
	v_fma_f64 v[62:63], v[51:52], s[36:37], v[62:63]
	v_add_f64 v[15:16], v[25:26], v[15:16]
	v_add_f64 v[21:22], v[41:42], v[21:22]
	v_fma_f64 v[25:26], v[49:50], s[34:35], -v[82:83]
	v_fma_f64 v[41:42], v[51:52], s[48:49], v[90:91]
	v_fma_f64 v[182:183], v[51:52], s[50:51], v[182:183]
	v_fma_f64 v[236:237], v[45:46], s[16:17], -v[236:237]
	v_fma_f64 v[212:213], v[51:52], s[58:59], v[212:213]
	v_fma_f64 v[122:123], v[45:46], s[34:35], v[222:223]
	;; [unrolled: 1-line block ×3, first 2 shown]
	v_add_f64 v[108:109], v[244:245], v[108:109]
	v_add_f64 v[120:121], v[246:247], v[120:121]
	v_fma_f64 v[242:243], v[45:46], s[18:19], v[216:217]
	v_fma_f64 v[142:143], v[47:48], s[58:59], v[240:241]
	v_add_f64 v[116:117], v[230:231], v[116:117]
	v_add_f64 v[49:50], v[84:85], v[138:139]
	;; [unrolled: 1-line block ×3, first 2 shown]
	v_fma_f64 v[70:71], v[45:46], s[6:7], v[198:199]
	v_fma_f64 v[72:73], v[47:48], s[60:61], v[124:125]
	v_add_f64 v[82:83], v[39:40], v[37:38]
	v_add_f64 v[68:69], v[68:69], v[33:34]
	v_fma_f64 v[84:85], v[45:46], s[22:23], v[74:75]
	v_fma_f64 v[90:91], v[47:48], s[62:63], v[76:77]
	v_add_f64 v[57:58], v[59:60], v[57:58]
	v_fma_f64 v[59:60], v[45:46], s[6:7], -v[198:199]
	v_add_f64 v[35:36], v[78:79], v[35:36]
	v_add_f64 v[78:79], v[80:81], v[43:44]
	v_fma_f64 v[80:81], v[45:46], s[20:21], v[55:56]
	v_fma_f64 v[92:93], v[47:48], s[54:55], v[53:54]
	v_add_f64 v[11:12], v[66:67], v[11:12]
	v_fma_f64 v[66:67], v[47:48], s[46:47], v[124:125]
	v_add_f64 v[23:24], v[64:65], v[23:24]
	v_add_f64 v[96:97], v[62:63], v[27:28]
	v_fma_f64 v[62:63], v[45:46], s[20:21], -v[55:56]
	v_fma_f64 v[98:99], v[47:48], s[42:43], v[53:54]
	v_add_f64 v[15:16], v[25:26], v[15:16]
	v_add_f64 v[104:105], v[41:42], v[21:22]
	v_fma_f64 v[74:75], v[45:46], s[22:23], -v[74:75]
	v_fma_f64 v[76:77], v[47:48], s[36:37], v[76:77]
	v_fma_f64 v[216:217], v[45:46], s[18:19], -v[216:217]
	v_fma_f64 v[240:241], v[47:48], s[38:39], v[240:241]
	v_add_f64 v[148:149], v[182:183], v[148:149]
	v_fma_f64 v[222:223], v[45:46], s[34:35], -v[222:223]
	v_add_f64 v[21:22], v[236:237], v[102:103]
	v_add_f64 v[102:103], v[212:213], v[150:151]
	v_fma_f64 v[106:107], v[47:48], s[48:49], v[214:215]
	v_fma_f64 v[188:189], v[47:48], s[40:41], v[188:189]
	;; [unrolled: 1-line block ×4, first 2 shown]
	v_add_f64 v[5:6], v[144:145], v[5:6]
	v_add_f64 v[25:26], v[122:123], v[108:109]
	v_add_f64 v[27:28], v[140:141], v[120:121]
	v_add_f64 v[37:38], v[242:243], v[116:117]
	v_add_f64 v[39:40], v[142:143], v[166:167]
	v_add_f64 v[45:46], v[70:71], v[49:50]
	v_add_f64 v[47:48], v[72:73], v[51:52]
	v_add_f64 v[53:54], v[84:85], v[82:83]
	v_add_f64 v[55:56], v[90:91], v[68:69]
	v_add_f64 v[49:50], v[59:60], v[57:58]
	v_add_f64 v[57:58], v[80:81], v[35:36]
	v_add_f64 v[59:60], v[92:93], v[78:79]
	v_add_f64 v[51:52], v[66:67], v[11:12]
	v_add_f64 v[63:64], v[62:63], v[23:24]
	v_add_f64 v[65:66], v[98:99], v[96:97]
	v_add_f64 v[67:68], v[74:75], v[15:16]
	v_add_f64 v[69:70], v[76:77], v[104:105]
	v_add_f64 v[41:42], v[216:217], v[180:181]
	v_add_f64 v[43:44], v[240:241], v[148:149]
	v_mul_u32_u24_e32 v71, 0x770, v0
	v_lshlrev_b32_e32 v62, 4, v249
	v_add_f64 v[33:34], v[222:223], v[132:133]
	v_add_f64 v[35:36], v[106:107], v[102:103]
	;; [unrolled: 1-line block ×5, first 2 shown]
	v_add3_u32 v71, 0, v71, v62
	ds_write_b128 v71, v[5:8]
	ds_write_b128 v71, v[1:4] offset:112
	ds_write_b128 v71, v[17:20] offset:224
	;; [unrolled: 1-line block ×16, first 2 shown]
	s_waitcnt lgkmcnt(0)
	s_barrier
	buffer_gl0_inv
	s_and_saveexec_b32 s29, vcc_lo
	s_cbranch_execz .LBB0_14
; %bb.13:
	v_mul_lo_u16 v1, v0, 31
	v_mov_b32_e32 v95, 4
	v_lshrrev_b16 v1, 9, v1
	v_mul_lo_u16 v1, v1, 17
	v_sub_nc_u16 v1, v0, v1
	v_mul_u32_u24_e32 v0, 0x70, v0
	v_and_b32_e32 v116, 0xff, v1
	v_add3_u32 v62, 0, v0, v62
	v_lshlrev_b32_e32 v63, 8, v116
	v_mul_lo_u32 v67, v61, v116
	v_add_nc_u32_e32 v68, 0x110, v116
	v_add_nc_u32_e32 v83, 0xff, v116
	s_clause 0xf
	global_load_dwordx4 v[1:4], v63, s[30:31] offset:112
	global_load_dwordx4 v[29:32], v63, s[30:31] offset:128
	;; [unrolled: 1-line block ×14, first 2 shown]
	global_load_dwordx4 v[57:60], v63, s[30:31]
	global_load_dwordx4 v[63:66], v63, s[30:31] offset:240
	v_mul_lo_u32 v75, v61, v68
	v_mul_lo_u32 v83, v61, v83
	v_bfe_u32 v68, v67, 8, 8
	v_lshlrev_b32_sdwa v67, v95, v67 dst_sel:DWORD dst_unused:UNUSED_PAD src0_sel:DWORD src1_sel:BYTE_0
	v_lshl_or_b32 v71, v68, 4, 0x1000
	v_bfe_u32 v76, v75, 8, 8
	v_lshlrev_b32_sdwa v75, v95, v75 dst_sel:DWORD dst_unused:UNUSED_PAD src0_sel:DWORD src1_sel:BYTE_0
	s_clause 0x1
	global_load_dwordx4 v[67:70], v67, s[12:13]
	global_load_dwordx4 v[71:74], v71, s[12:13]
	v_bfe_u32 v84, v83, 8, 8
	v_lshl_or_b32 v79, v76, 4, 0x1000
	v_lshlrev_b32_sdwa v83, v95, v83 dst_sel:DWORD dst_unused:UNUSED_PAD src0_sel:DWORD src1_sel:BYTE_0
	s_clause 0x1
	global_load_dwordx4 v[75:78], v75, s[12:13]
	global_load_dwordx4 v[79:82], v79, s[12:13]
	v_lshl_or_b32 v87, v84, 4, 0x1000
	s_clause 0x1
	global_load_dwordx4 v[83:86], v83, s[12:13]
	global_load_dwordx4 v[87:90], v87, s[12:13]
	ds_read_b128 v[91:94], v62 offset:15232
	ds_read_b128 v[96:99], v62 offset:17136
	;; [unrolled: 1-line block ×5, first 2 shown]
	s_waitcnt vmcnt(21) lgkmcnt(4)
	v_mul_f64 v[112:113], v[93:94], v[3:4]
	v_mul_f64 v[3:4], v[91:92], v[3:4]
	s_waitcnt vmcnt(20) lgkmcnt(3)
	v_mul_f64 v[114:115], v[98:99], v[31:32]
	v_mul_f64 v[31:32], v[96:97], v[31:32]
	v_fma_f64 v[117:118], v[91:92], v[1:2], v[112:113]
	s_waitcnt vmcnt(19) lgkmcnt(2)
	v_mul_f64 v[91:92], v[102:103], v[27:28]
	v_mul_f64 v[27:28], v[100:101], v[27:28]
	v_fma_f64 v[130:131], v[93:94], v[1:2], -v[3:4]
	ds_read_b128 v[0:3], v62 offset:20944
	v_fma_f64 v[112:113], v[96:97], v[29:30], v[114:115]
	v_fma_f64 v[114:115], v[98:99], v[29:30], -v[31:32]
	s_waitcnt vmcnt(18) lgkmcnt(2)
	v_mul_f64 v[29:30], v[106:107], v[23:24]
	v_mul_f64 v[31:32], v[104:105], v[23:24]
	s_waitcnt vmcnt(17) lgkmcnt(1)
	v_mul_f64 v[93:94], v[110:111], v[19:20]
	v_mul_f64 v[96:97], v[108:109], v[19:20]
	v_fma_f64 v[132:133], v[100:101], v[25:26], v[91:92]
	v_fma_f64 v[136:137], v[102:103], v[25:26], -v[27:28]
	ds_read_b128 v[23:26], v62 offset:9520
	s_waitcnt vmcnt(16) lgkmcnt(1)
	v_mul_f64 v[91:92], v[2:3], v[15:16]
	v_mul_f64 v[98:99], v[0:1], v[15:16]
	v_fma_f64 v[100:101], v[104:105], v[21:22], v[29:30]
	v_fma_f64 v[102:103], v[106:107], v[21:22], -v[31:32]
	ds_read_b128 v[19:22], v62 offset:22848
	ds_read_b128 v[27:30], v62 offset:7616
	v_fma_f64 v[142:143], v[108:109], v[17:18], v[93:94]
	v_fma_f64 v[110:111], v[110:111], v[17:18], -v[96:97]
	ds_read_b128 v[15:18], v62 offset:24752
	s_waitcnt vmcnt(15) lgkmcnt(3)
	v_mul_f64 v[31:32], v[25:26], v[11:12]
	v_mul_f64 v[11:12], v[23:24], v[11:12]
	v_fma_f64 v[93:94], v[0:1], v[13:14], v[91:92]
	v_fma_f64 v[96:97], v[2:3], v[13:14], -v[98:99]
	ds_read_b128 v[0:3], v62 offset:5712
	s_waitcnt vmcnt(14) lgkmcnt(3)
	v_mul_f64 v[13:14], v[21:22], v[7:8]
	v_mul_f64 v[7:8], v[19:20], v[7:8]
	s_waitcnt vmcnt(13) lgkmcnt(2)
	v_mul_f64 v[91:92], v[29:30], v[35:36]
	v_mul_f64 v[35:36], v[27:28], v[35:36]
	v_fma_f64 v[144:145], v[23:24], v[9:10], v[31:32]
	v_fma_f64 v[148:149], v[25:26], v[9:10], -v[11:12]
	s_waitcnt vmcnt(12) lgkmcnt(1)
	v_mul_f64 v[23:24], v[17:18], v[39:40]
	v_mul_f64 v[25:26], v[15:16], v[39:40]
	s_waitcnt vmcnt(0)
	v_mul_f64 v[31:32], v[83:84], v[89:90]
	v_fma_f64 v[98:99], v[19:20], v[5:6], v[13:14]
	v_fma_f64 v[104:105], v[21:22], v[5:6], -v[7:8]
	ds_read_b128 v[4:7], v62 offset:26656
	ds_read_b128 v[8:11], v62 offset:3808
	v_fma_f64 v[146:147], v[27:28], v[33:34], v[91:92]
	s_waitcnt lgkmcnt(2)
	v_mul_f64 v[12:13], v[2:3], v[43:44]
	v_mul_f64 v[27:28], v[0:1], v[43:44]
	ds_read_b128 v[19:22], v62 offset:28560
	v_fma_f64 v[150:151], v[29:30], v[33:34], -v[35:36]
	v_fma_f64 v[91:92], v[15:16], v[37:38], v[23:24]
	v_fma_f64 v[106:107], v[17:18], v[37:38], -v[25:26]
	v_fma_f64 v[43:44], v[85:86], v[87:88], v[31:32]
	s_waitcnt lgkmcnt(2)
	v_mul_f64 v[16:17], v[6:7], v[47:48]
	v_mul_f64 v[23:24], v[4:5], v[47:48]
	s_waitcnt lgkmcnt(1)
	v_mul_f64 v[25:26], v[10:11], v[51:52]
	v_mul_f64 v[29:30], v[8:9], v[51:52]
	v_fma_f64 v[138:139], v[0:1], v[41:42], v[12:13]
	v_fma_f64 v[152:153], v[2:3], v[41:42], -v[27:28]
	ds_read_b128 v[0:3], v62 offset:1904
	ds_read_b128 v[12:15], v62 offset:30464
	ds_read_b128 v[33:36], v62
	v_mul_f64 v[27:28], v[75:76], v[81:82]
	v_fma_f64 v[37:38], v[4:5], v[45:46], v[16:17]
	s_waitcnt lgkmcnt(3)
	v_mul_f64 v[4:5], v[21:22], v[55:56]
	v_add_nc_u32_e32 v16, 0xee, v116
	v_fma_f64 v[108:109], v[6:7], v[45:46], -v[23:24]
	v_mul_f64 v[6:7], v[19:20], v[55:56]
	v_fma_f64 v[119:120], v[8:9], v[49:50], v[25:26]
	s_waitcnt lgkmcnt(2)
	v_mul_f64 v[8:9], v[2:3], v[59:60]
	v_mul_lo_u32 v18, v61, v16
	s_waitcnt lgkmcnt(1)
	v_mul_f64 v[16:17], v[14:15], v[65:66]
	v_fma_f64 v[134:135], v[10:11], v[49:50], -v[29:30]
	v_mul_f64 v[10:11], v[0:1], v[59:60]
	v_mul_f64 v[23:24], v[12:13], v[65:66]
	v_add_nc_u32_e32 v26, 0xcc, v116
	v_mul_f64 v[29:30], v[85:86], v[89:90]
	v_bfe_u32 v25, v18, 8, 8
	v_fma_f64 v[39:40], v[19:20], v[53:54], v[4:5]
	v_lshlrev_b32_sdwa v4, v95, v18 dst_sel:DWORD dst_unused:UNUSED_PAD src0_sel:DWORD src1_sel:BYTE_0
	v_mul_f64 v[18:19], v[67:68], v[73:74]
	v_fma_f64 v[55:56], v[21:22], v[53:54], -v[6:7]
	v_add_nc_u32_e32 v22, 0xdd, v116
	v_mul_f64 v[20:21], v[69:70], v[73:74]
	v_fma_f64 v[190:191], v[0:1], v[57:58], v[8:9]
	v_fma_f64 v[49:50], v[12:13], v[63:64], v[16:17]
	v_lshl_or_b32 v5, v25, 4, 0x1000
	v_mul_lo_u32 v8, v61, v22
	v_fma_f64 v[192:193], v[2:3], v[57:58], -v[10:11]
	s_clause 0x1
	global_load_dwordx4 v[0:3], v4, s[12:13]
	global_load_dwordx4 v[4:7], v5, s[12:13]
	v_fma_f64 v[73:74], v[14:15], v[63:64], -v[23:24]
	v_mul_lo_u32 v22, v61, v26
	v_mul_f64 v[25:26], v[77:78], v[81:82]
	v_add_nc_u32_e32 v24, 0xbb, v116
	v_bfe_u32 v9, v8, 8, 8
	v_lshlrev_b32_sdwa v8, v95, v8 dst_sel:DWORD dst_unused:UNUSED_PAD src0_sel:DWORD src1_sel:BYTE_0
	v_fma_f64 v[64:65], v[77:78], v[79:80], v[27:28]
	v_fma_f64 v[41:42], v[83:84], v[87:88], -v[29:30]
	v_mul_lo_u32 v24, v61, v24
	v_lshl_or_b32 v12, v9, 4, 0x1000
	s_clause 0x1
	global_load_dwordx4 v[8:11], v8, s[12:13]
	global_load_dwordx4 v[12:15], v12, s[12:13]
	v_fma_f64 v[17:18], v[69:70], v[71:72], v[18:19]
	v_bfe_u32 v16, v22, 8, 8
	buffer_store_dword v17, off, s[68:71], 0 offset:96 ; 4-byte Folded Spill
	buffer_store_dword v18, off, s[68:71], 0 offset:100 ; 4-byte Folded Spill
	v_fma_f64 v[17:18], v[67:68], v[71:72], -v[20:21]
	v_lshl_or_b32 v20, v16, 4, 0x1000
	v_fma_f64 v[59:60], v[75:76], v[79:80], -v[25:26]
	v_bfe_u32 v25, v24, 8, 8
	v_lshlrev_b32_sdwa v24, v95, v24 dst_sel:DWORD dst_unused:UNUSED_PAD src0_sel:DWORD src1_sel:BYTE_0
	buffer_store_dword v17, off, s[68:71], 0 offset:80 ; 4-byte Folded Spill
	buffer_store_dword v18, off, s[68:71], 0 offset:84 ; 4-byte Folded Spill
	v_lshlrev_b32_sdwa v17, v95, v22 dst_sel:DWORD dst_unused:UNUSED_PAD src0_sel:DWORD src1_sel:BYTE_0
	s_clause 0x1
	global_load_dwordx4 v[16:19], v17, s[12:13]
	global_load_dwordx4 v[20:23], v20, s[12:13]
	v_lshl_or_b32 v28, v25, 4, 0x1000
	s_clause 0x1
	global_load_dwordx4 v[24:27], v24, s[12:13]
	global_load_dwordx4 v[28:31], v28, s[12:13]
	s_waitcnt vmcnt(6)
	v_mul_f64 v[45:46], v[2:3], v[6:7]
	v_mul_f64 v[6:7], v[0:1], v[6:7]
	s_waitcnt vmcnt(4)
	v_mul_f64 v[47:48], v[10:11], v[14:15]
	v_fma_f64 v[45:46], v[0:1], v[4:5], -v[45:46]
	v_mul_f64 v[0:1], v[8:9], v[14:15]
	v_fma_f64 v[66:67], v[2:3], v[4:5], v[6:7]
	v_add_nc_u32_e32 v6, 0xaa, v116
	v_mul_lo_u32 v6, v61, v6
	v_fma_f64 v[53:54], v[8:9], v[12:13], -v[47:48]
	v_bfe_u32 v7, v6, 8, 8
	v_fma_f64 v[51:52], v[10:11], v[12:13], v[0:1]
	v_lshlrev_b32_sdwa v0, v95, v6 dst_sel:DWORD dst_unused:UNUSED_PAD src0_sel:DWORD src1_sel:BYTE_0
	v_lshl_or_b32 v6, v7, 4, 0x1000
	v_add_nc_u32_e32 v12, 0x99, v116
	v_mul_lo_u32 v12, v61, v12
	v_bfe_u32 v13, v12, 8, 8
	v_lshlrev_b32_sdwa v12, v95, v12 dst_sel:DWORD dst_unused:UNUSED_PAD src0_sel:DWORD src1_sel:BYTE_0
	s_waitcnt vmcnt(2)
	v_mul_f64 v[2:3], v[18:19], v[22:23]
	v_mul_f64 v[4:5], v[16:17], v[22:23]
	v_lshl_or_b32 v13, v13, 4, 0x1000
	s_waitcnt vmcnt(0)
	v_mul_f64 v[8:9], v[26:27], v[30:31]
	v_mul_f64 v[10:11], v[24:25], v[30:31]
	v_fma_f64 v[62:63], v[16:17], v[20:21], -v[2:3]
	v_fma_f64 v[47:48], v[18:19], v[20:21], v[4:5]
	s_clause 0x1
	global_load_dwordx4 v[0:3], v0, s[12:13]
	global_load_dwordx4 v[4:7], v6, s[12:13]
	v_fma_f64 v[122:123], v[24:25], v[28:29], -v[8:9]
	v_fma_f64 v[124:125], v[26:27], v[28:29], v[10:11]
	s_clause 0x1
	global_load_dwordx4 v[8:11], v12, s[12:13]
	global_load_dwordx4 v[12:15], v13, s[12:13]
	s_waitcnt vmcnt(2)
	v_mul_f64 v[20:21], v[2:3], v[6:7]
	v_mul_f64 v[6:7], v[0:1], v[6:7]
	s_waitcnt vmcnt(0)
	v_mul_f64 v[24:25], v[10:11], v[14:15]
	v_fma_f64 v[68:69], v[0:1], v[4:5], -v[20:21]
	v_fma_f64 v[57:58], v[2:3], v[4:5], v[6:7]
	v_mul_f64 v[0:1], v[8:9], v[14:15]
	v_add_nc_u32_e32 v2, 0x88, v116
	v_fma_f64 v[126:127], v[8:9], v[12:13], -v[24:25]
	v_mul_lo_u32 v2, v61, v2
	v_bfe_u32 v3, v2, 8, 8
	v_lshlrev_b32_sdwa v2, v95, v2 dst_sel:DWORD dst_unused:UNUSED_PAD src0_sel:DWORD src1_sel:BYTE_0
	v_lshl_or_b32 v4, v3, 4, 0x1000
	v_fma_f64 v[128:129], v[10:11], v[12:13], v[0:1]
	s_clause 0x1
	global_load_dwordx4 v[0:3], v2, s[12:13]
	global_load_dwordx4 v[4:7], v4, s[12:13]
	v_add_nc_u32_e32 v10, 0x77, v116
	v_mov_b32_e32 v12, v119
	v_mov_b32_e32 v13, v120
	v_mul_lo_u32 v10, v61, v10
	v_bfe_u32 v11, v10, 8, 8
	v_lshlrev_b32_sdwa v10, v95, v10 dst_sel:DWORD dst_unused:UNUSED_PAD src0_sel:DWORD src1_sel:BYTE_0
	v_lshl_or_b32 v11, v11, 4, 0x1000
	s_waitcnt vmcnt(0)
	v_mul_f64 v[8:9], v[2:3], v[6:7]
	v_mul_f64 v[6:7], v[0:1], v[6:7]
	v_fma_f64 v[0:1], v[0:1], v[4:5], -v[8:9]
	buffer_store_dword v0, off, s[68:71], 0 offset:184 ; 4-byte Folded Spill
	buffer_store_dword v1, off, s[68:71], 0 offset:188 ; 4-byte Folded Spill
	v_fma_f64 v[0:1], v[2:3], v[4:5], v[6:7]
	buffer_store_dword v0, off, s[68:71], 0 offset:200 ; 4-byte Folded Spill
	buffer_store_dword v1, off, s[68:71], 0 offset:204 ; 4-byte Folded Spill
	s_clause 0x1
	global_load_dwordx4 v[0:3], v10, s[12:13]
	global_load_dwordx4 v[4:7], v11, s[12:13]
	v_mov_b32_e32 v10, v134
	v_mov_b32_e32 v11, v135
	s_waitcnt vmcnt(0)
	v_mul_f64 v[8:9], v[2:3], v[6:7]
	v_fma_f64 v[8:9], v[0:1], v[4:5], -v[8:9]
	v_mul_f64 v[0:1], v[0:1], v[6:7]
	buffer_store_dword v8, off, s[68:71], 0 offset:176 ; 4-byte Folded Spill
	buffer_store_dword v9, off, s[68:71], 0 offset:180 ; 4-byte Folded Spill
	v_fma_f64 v[0:1], v[2:3], v[4:5], v[0:1]
	buffer_store_dword v0, off, s[68:71], 0 offset:208 ; 4-byte Folded Spill
	buffer_store_dword v1, off, s[68:71], 0 offset:212 ; 4-byte Folded Spill
	v_add_nc_u32_e32 v0, 0x66, v116
	v_mul_lo_u32 v0, v61, v0
	v_bfe_u32 v1, v0, 8, 8
	v_lshlrev_b32_sdwa v0, v95, v0 dst_sel:DWORD dst_unused:UNUSED_PAD src0_sel:DWORD src1_sel:BYTE_0
	v_lshl_or_b32 v4, v1, 4, 0x1000
	s_clause 0x1
	global_load_dwordx4 v[0:3], v0, s[12:13]
	global_load_dwordx4 v[4:7], v4, s[12:13]
	s_waitcnt vmcnt(0)
	v_mul_f64 v[8:9], v[2:3], v[6:7]
	v_fma_f64 v[8:9], v[0:1], v[4:5], -v[8:9]
	v_mul_f64 v[0:1], v[0:1], v[6:7]
	buffer_store_dword v8, off, s[68:71], 0 offset:120 ; 4-byte Folded Spill
	buffer_store_dword v9, off, s[68:71], 0 offset:124 ; 4-byte Folded Spill
	v_fma_f64 v[0:1], v[2:3], v[4:5], v[0:1]
	buffer_store_dword v0, off, s[68:71], 0 offset:216 ; 4-byte Folded Spill
	buffer_store_dword v1, off, s[68:71], 0 offset:220 ; 4-byte Folded Spill
	v_add_nc_u32_e32 v0, 0x55, v116
	v_mul_lo_u32 v0, v61, v0
	v_bfe_u32 v1, v0, 8, 8
	v_lshlrev_b32_sdwa v0, v95, v0 dst_sel:DWORD dst_unused:UNUSED_PAD src0_sel:DWORD src1_sel:BYTE_0
	v_lshl_or_b32 v4, v1, 4, 0x1000
	s_clause 0x1
	global_load_dwordx4 v[0:3], v0, s[12:13]
	global_load_dwordx4 v[4:7], v4, s[12:13]
	s_waitcnt vmcnt(0)
	v_mul_f64 v[8:9], v[0:1], v[6:7]
	v_fma_f64 v[8:9], v[2:3], v[4:5], v[8:9]
	v_mul_f64 v[2:3], v[2:3], v[6:7]
	buffer_store_dword v8, off, s[68:71], 0 offset:224 ; 4-byte Folded Spill
	buffer_store_dword v9, off, s[68:71], 0 offset:228 ; 4-byte Folded Spill
	v_fma_f64 v[0:1], v[0:1], v[4:5], -v[2:3]
	buffer_store_dword v0, off, s[68:71], 0 offset:136 ; 4-byte Folded Spill
	buffer_store_dword v1, off, s[68:71], 0 offset:140 ; 4-byte Folded Spill
	v_add_nc_u32_e32 v0, 0x44, v116
	v_mul_lo_u32 v0, v61, v0
	v_bfe_u32 v1, v0, 8, 8
	v_lshlrev_b32_sdwa v0, v95, v0 dst_sel:DWORD dst_unused:UNUSED_PAD src0_sel:DWORD src1_sel:BYTE_0
	v_lshl_or_b32 v4, v1, 4, 0x1000
	s_clause 0x1
	global_load_dwordx4 v[0:3], v0, s[12:13]
	global_load_dwordx4 v[4:7], v4, s[12:13]
	s_waitcnt vmcnt(0)
	v_mul_f64 v[8:9], v[0:1], v[6:7]
	v_fma_f64 v[8:9], v[2:3], v[4:5], v[8:9]
	v_mul_f64 v[2:3], v[2:3], v[6:7]
	buffer_store_dword v8, off, s[68:71], 0 offset:232 ; 4-byte Folded Spill
	buffer_store_dword v9, off, s[68:71], 0 offset:236 ; 4-byte Folded Spill
	v_fma_f64 v[0:1], v[0:1], v[4:5], -v[2:3]
	;; [unrolled: 17-line block ×4, first 2 shown]
	buffer_store_dword v0, off, s[68:71], 0 offset:144 ; 4-byte Folded Spill
	buffer_store_dword v1, off, s[68:71], 0 offset:148 ; 4-byte Folded Spill
	v_add_nc_u32_e32 v0, 17, v116
	v_mul_lo_u32 v0, v61, v0
	v_lshlrev_b32_sdwa v1, v95, v0 dst_sel:DWORD dst_unused:UNUSED_PAD src0_sel:DWORD src1_sel:BYTE_0
	v_bfe_u32 v0, v0, 8, 8
	v_lshl_or_b32 v4, v0, 4, 0x1000
	s_clause 0x1
	global_load_dwordx4 v[0:3], v1, s[12:13]
	global_load_dwordx4 v[4:7], v4, s[12:13]
	s_waitcnt vmcnt(0)
	v_mul_f64 v[8:9], v[0:1], v[6:7]
	v_fma_f64 v[8:9], v[2:3], v[4:5], v[8:9]
	v_mul_f64 v[2:3], v[2:3], v[6:7]
	buffer_store_dword v8, off, s[68:71], 0 offset:160 ; 4-byte Folded Spill
	buffer_store_dword v9, off, s[68:71], 0 offset:164 ; 4-byte Folded Spill
	v_fma_f64 v[0:1], v[0:1], v[4:5], -v[2:3]
	buffer_store_dword v0, off, s[68:71], 0 offset:88 ; 4-byte Folded Spill
	buffer_store_dword v1, off, s[68:71], 0 offset:92 ; 4-byte Folded Spill
	v_mov_b32_e32 v8, v49
	v_mov_b32_e32 v0, v39
	;; [unrolled: 1-line block ×4, first 2 shown]
	buffer_store_dword v8, off, s[68:71], 0 offset:248 ; 4-byte Folded Spill
	buffer_store_dword v9, off, s[68:71], 0 offset:252 ; 4-byte Folded Spill
	;; [unrolled: 1-line block ×12, first 2 shown]
	v_add_f64 v[49:50], v[190:191], -v[8:9]
	v_add_f64 v[254:255], v[190:191], v[8:9]
	v_mov_b32_e32 v8, v138
	v_add_f64 v[39:40], v[12:13], -v[0:1]
	v_add_f64 v[140:141], v[12:13], v[0:1]
	v_add_f64 v[30:31], v[10:11], -v[55:56]
	v_add_f64 v[134:135], v[10:11], v[55:56]
	v_mov_b32_e32 v9, v139
	v_add_f64 v[250:251], v[192:193], v[73:74]
	v_add_f64 v[120:121], v[192:193], -v[73:74]
	v_mul_f64 v[252:253], v[49:50], s[50:51]
	v_mul_f64 v[80:81], v[49:50], s[54:55]
	;; [unrolled: 1-line block ×3, first 2 shown]
	buffer_store_dword v4, off, s[68:71], 0 offset:304 ; 4-byte Folded Spill
	buffer_store_dword v5, off, s[68:71], 0 offset:308 ; 4-byte Folded Spill
	v_mul_f64 v[0:1], v[30:31], s[56:57]
	buffer_store_dword v0, off, s[68:71], 0 offset:312 ; 4-byte Folded Spill
	buffer_store_dword v1, off, s[68:71], 0 offset:316 ; 4-byte Folded Spill
	v_fma_f64 v[2:3], v[250:251], s[4:5], v[252:253]
	v_mul_f64 v[226:227], v[120:121], s[50:51]
	v_mul_f64 v[70:71], v[120:121], s[60:61]
	;; [unrolled: 1-line block ×8, first 2 shown]
	s_waitcnt lgkmcnt(0)
	v_add_f64 v[2:3], v[35:36], v[2:3]
	v_fma_f64 v[6:7], v[134:135], s[34:35], v[4:5]
	v_add_f64 v[2:3], v[6:7], v[2:3]
	v_fma_f64 v[10:11], v[140:141], s[34:35], -v[0:1]
	v_mov_b32_e32 v0, v37
	v_mov_b32_e32 v1, v38
	buffer_store_dword v0, off, s[68:71], 0 offset:280 ; 4-byte Folded Spill
	buffer_store_dword v1, off, s[68:71], 0 offset:284 ; 4-byte Folded Spill
	;; [unrolled: 1-line block ×8, first 2 shown]
	v_fma_f64 v[6:7], v[254:255], s[4:5], -v[226:227]
	v_add_f64 v[6:7], v[33:34], v[6:7]
	v_add_f64 v[6:7], v[10:11], v[6:7]
	v_add_f64 v[37:38], v[8:9], -v[0:1]
	v_add_f64 v[28:29], v[152:153], -v[108:109]
	v_add_f64 v[138:139], v[152:153], v[108:109]
	v_add_f64 v[152:153], v[8:9], v[0:1]
	v_mul_f64 v[4:5], v[37:38], s[60:61]
	buffer_store_dword v4, off, s[68:71], 0 offset:320 ; 4-byte Folded Spill
	buffer_store_dword v5, off, s[68:71], 0 offset:324 ; 4-byte Folded Spill
	v_mul_f64 v[0:1], v[28:29], s[60:61]
	buffer_store_dword v0, off, s[68:71], 0 offset:360 ; 4-byte Folded Spill
	buffer_store_dword v1, off, s[68:71], 0 offset:364 ; 4-byte Folded Spill
	;; [unrolled: 1-line block ×4, first 2 shown]
	v_mul_f64 v[232:233], v[37:38], s[66:67]
	v_mul_f64 v[180:181], v[37:38], s[62:63]
	;; [unrolled: 1-line block ×4, first 2 shown]
	v_fma_f64 v[10:11], v[138:139], s[6:7], v[4:5]
	v_mov_b32_e32 v4, v146
	v_mov_b32_e32 v5, v147
	buffer_store_dword v4, off, s[68:71], 0 offset:500 ; 4-byte Folded Spill
	buffer_store_dword v5, off, s[68:71], 0 offset:504 ; 4-byte Folded Spill
	;; [unrolled: 1-line block ×6, first 2 shown]
	v_add_f64 v[2:3], v[10:11], v[2:3]
	v_fma_f64 v[10:11], v[152:153], s[6:7], -v[0:1]
	v_add_f64 v[6:7], v[10:11], v[6:7]
	v_add_f64 v[26:27], v[4:5], -v[91:92]
	v_add_f64 v[146:147], v[150:151], v[106:107]
	v_add_f64 v[24:25], v[150:151], -v[106:107]
	v_add_f64 v[160:161], v[4:5], v[91:92]
	v_mul_f64 v[90:91], v[49:50], s[60:61]
	v_mul_f64 v[0:1], v[26:27], s[54:55]
	buffer_store_dword v0, off, s[68:71], 0 offset:336 ; 4-byte Folded Spill
	buffer_store_dword v1, off, s[68:71], 0 offset:340 ; 4-byte Folded Spill
	v_mul_f64 v[236:237], v[26:27], s[62:63]
	v_mul_f64 v[228:229], v[24:25], s[62:63]
	;; [unrolled: 1-line block ×7, first 2 shown]
	v_fma_f64 v[10:11], v[146:147], s[20:21], v[0:1]
	v_mul_f64 v[0:1], v[24:25], s[54:55]
	buffer_store_dword v0, off, s[68:71], 0 offset:368 ; 4-byte Folded Spill
	buffer_store_dword v1, off, s[68:71], 0 offset:372 ; 4-byte Folded Spill
	;; [unrolled: 1-line block ×6, first 2 shown]
	v_add_f64 v[2:3], v[10:11], v[2:3]
	buffer_store_dword v104, off, s[68:71], 0 offset:328 ; 4-byte Folded Spill
	buffer_store_dword v105, off, s[68:71], 0 offset:332 ; 4-byte Folded Spill
	;; [unrolled: 1-line block ×4, first 2 shown]
	v_fma_f64 v[10:11], v[160:161], s[20:21], -v[0:1]
	v_add_f64 v[22:23], v[144:145], -v[98:99]
	v_add_f64 v[170:171], v[144:145], v[98:99]
	v_add_f64 v[150:151], v[148:149], v[104:105]
	v_add_f64 v[20:21], v[148:149], -v[104:105]
	v_mul_f64 v[144:145], v[49:50], s[56:57]
	v_add_f64 v[6:7], v[10:11], v[6:7]
	v_mul_f64 v[0:1], v[22:23], s[36:37]
	buffer_store_dword v0, off, s[68:71], 0 offset:352 ; 4-byte Folded Spill
	buffer_store_dword v1, off, s[68:71], 0 offset:356 ; 4-byte Folded Spill
	v_mul_f64 v[240:241], v[22:23], s[48:49]
	v_mul_f64 v[230:231], v[20:21], s[48:49]
	;; [unrolled: 1-line block ×7, first 2 shown]
	v_fma_f64 v[10:11], v[150:151], s[22:23], v[0:1]
	v_mul_f64 v[0:1], v[20:21], s[36:37]
	buffer_store_dword v0, off, s[68:71], 0 offset:400 ; 4-byte Folded Spill
	buffer_store_dword v1, off, s[68:71], 0 offset:404 ; 4-byte Folded Spill
	buffer_store_dword v93, off, s[68:71], 0 offset:444 ; 4-byte Folded Spill
	buffer_store_dword v94, off, s[68:71], 0 offset:448 ; 4-byte Folded Spill
	buffer_store_dword v142, off, s[68:71], 0 offset:540 ; 4-byte Folded Spill
	buffer_store_dword v143, off, s[68:71], 0 offset:544 ; 4-byte Folded Spill
	buffer_store_dword v96, off, s[68:71], 0 offset:436 ; 4-byte Folded Spill
	buffer_store_dword v97, off, s[68:71], 0 offset:440 ; 4-byte Folded Spill
	buffer_store_dword v110, off, s[68:71], 0 offset:532 ; 4-byte Folded Spill
	buffer_store_dword v111, off, s[68:71], 0 offset:536 ; 4-byte Folded Spill
	v_add_f64 v[2:3], v[10:11], v[2:3]
	v_fma_f64 v[10:11], v[170:171], s[22:23], -v[0:1]
	v_add_f64 v[16:17], v[142:143], -v[93:94]
	v_add_f64 v[18:19], v[110:111], -v[96:97]
	v_add_f64 v[158:159], v[110:111], v[96:97]
	v_add_f64 v[178:179], v[142:143], v[93:94]
	v_mul_f64 v[142:143], v[30:31], s[64:65]
	v_add_f64 v[6:7], v[10:11], v[6:7]
	v_mul_f64 v[10:11], v[16:17], s[38:39]
	buffer_store_dword v10, off, s[68:71], 0 offset:376 ; 4-byte Folded Spill
	buffer_store_dword v11, off, s[68:71], 0 offset:380 ; 4-byte Folded Spill
	v_mul_f64 v[0:1], v[18:19], s[38:39]
	buffer_store_dword v0, off, s[68:71], 0 offset:408 ; 4-byte Folded Spill
	buffer_store_dword v1, off, s[68:71], 0 offset:412 ; 4-byte Folded Spill
	;; [unrolled: 1-line block ×10, first 2 shown]
	v_mul_f64 v[246:247], v[16:17], s[50:51]
	v_mul_f64 v[234:235], v[18:19], s[50:51]
	;; [unrolled: 1-line block ×7, first 2 shown]
	v_fma_f64 v[10:11], v[158:159], s[18:19], v[10:11]
	v_add_f64 v[2:3], v[10:11], v[2:3]
	v_fma_f64 v[10:11], v[178:179], s[18:19], -v[0:1]
	v_add_f64 v[12:13], v[132:133], -v[100:101]
	v_add_f64 v[14:15], v[136:137], -v[102:103]
	v_add_f64 v[166:167], v[136:137], v[102:103]
	v_add_f64 v[182:183], v[132:133], v[100:101]
	v_mul_f64 v[99:100], v[120:121], s[56:57]
	v_mov_b32_e32 v103, v248
	v_mul_f64 v[136:137], v[28:29], s[48:49]
	v_mul_f64 v[132:133], v[39:40], s[46:47]
	v_add_f64 v[6:7], v[10:11], v[6:7]
	v_mul_f64 v[10:11], v[12:13], s[40:41]
	v_mul_f64 v[0:1], v[14:15], s[40:41]
	buffer_store_dword v10, off, s[68:71], 0 offset:384 ; 4-byte Folded Spill
	buffer_store_dword v11, off, s[68:71], 0 offset:388 ; 4-byte Folded Spill
	;; [unrolled: 1-line block ×12, first 2 shown]
	v_mul_f64 v[238:239], v[14:15], s[54:55]
	v_mul_f64 v[148:149], v[12:13], s[58:59]
	;; [unrolled: 1-line block ×5, first 2 shown]
	v_fma_f64 v[10:11], v[166:167], s[16:17], v[10:11]
	v_add_f64 v[8:9], v[130:131], -v[114:115]
	v_add_f64 v[168:169], v[117:118], v[112:113]
	v_add_f64 v[186:187], v[130:131], v[114:115]
	v_mul_f64 v[114:115], v[37:38], s[48:49]
	v_mul_f64 v[130:131], v[24:25], s[60:61]
	v_add_f64 v[2:3], v[10:11], v[2:3]
	v_fma_f64 v[10:11], v[182:183], s[16:17], -v[0:1]
	v_mul_f64 v[4:5], v[8:9], s[44:45]
	buffer_store_dword v4, off, s[68:71], 0 offset:392 ; 4-byte Folded Spill
	buffer_store_dword v5, off, s[68:71], 0 offset:396 ; 4-byte Folded Spill
	v_add_f64 v[6:7], v[10:11], v[6:7]
	v_mul_f64 v[242:243], v[8:9], s[40:41]
	v_mul_f64 v[188:189], v[8:9], s[48:49]
	;; [unrolled: 1-line block ×3, first 2 shown]
	v_fma_f64 v[10:11], v[168:169], s[8:9], -v[4:5]
	v_add_f64 v[4:5], v[117:118], -v[112:113]
	v_mul_f64 v[117:118], v[20:21], s[44:45]
	v_mul_f64 v[112:113], v[37:38], s[50:51]
	v_add_f64 v[6:7], v[10:11], v[6:7]
	v_mul_f64 v[0:1], v[4:5], s[44:45]
	buffer_store_dword v0, off, s[68:71], 0 offset:428 ; 4-byte Folded Spill
	buffer_store_dword v1, off, s[68:71], 0 offset:432 ; 4-byte Folded Spill
	v_mul_f64 v[244:245], v[4:5], s[40:41]
	v_mul_f64 v[156:157], v[4:5], s[48:49]
	;; [unrolled: 1-line block ×3, first 2 shown]
	v_fma_f64 v[10:11], v[186:187], s[8:9], v[0:1]
	v_add_f64 v[2:3], v[10:11], v[2:3]
	v_mul_f64 v[10:11], v[6:7], v[64:65]
	v_mul_f64 v[64:65], v[2:3], v[64:65]
	v_fma_f64 v[2:3], v[2:3], v[59:60], -v[10:11]
	v_fma_f64 v[0:1], v[6:7], v[59:60], v[64:65]
	buffer_store_dword v0, off, s[68:71], 0 ; 4-byte Folded Spill
	buffer_store_dword v1, off, s[68:71], 0 offset:4 ; 4-byte Folded Spill
	buffer_store_dword v2, off, s[68:71], 0 offset:8 ; 4-byte Folded Spill
	;; [unrolled: 1-line block ×3, first 2 shown]
	v_mul_f64 v[0:1], v[39:40], s[54:55]
	buffer_store_dword v0, off, s[68:71], 0 offset:668 ; 4-byte Folded Spill
	buffer_store_dword v1, off, s[68:71], 0 offset:672 ; 4-byte Folded Spill
	v_fma_f64 v[2:3], v[250:251], s[34:35], v[144:145]
	v_mul_f64 v[59:60], v[49:50], s[36:37]
	v_add_f64 v[2:3], v[35:36], v[2:3]
	v_fma_f64 v[6:7], v[134:135], s[20:21], v[0:1]
	v_mul_f64 v[0:1], v[30:31], s[54:55]
	buffer_store_dword v0, off, s[68:71], 0 offset:644 ; 4-byte Folded Spill
	buffer_store_dword v1, off, s[68:71], 0 offset:648 ; 4-byte Folded Spill
	v_add_f64 v[2:3], v[6:7], v[2:3]
	v_fma_f64 v[6:7], v[254:255], s[34:35], -v[99:100]
	v_add_f64 v[6:7], v[33:34], v[6:7]
	v_fma_f64 v[10:11], v[140:141], s[20:21], -v[0:1]
	v_mul_f64 v[0:1], v[37:38], s[38:39]
	buffer_store_dword v0, off, s[68:71], 0 offset:676 ; 4-byte Folded Spill
	buffer_store_dword v1, off, s[68:71], 0 offset:680 ; 4-byte Folded Spill
	v_add_f64 v[6:7], v[10:11], v[6:7]
	v_fma_f64 v[10:11], v[138:139], s[18:19], v[0:1]
	v_mul_f64 v[0:1], v[28:29], s[38:39]
	buffer_store_dword v0, off, s[68:71], 0 offset:660 ; 4-byte Folded Spill
	buffer_store_dword v1, off, s[68:71], 0 offset:664 ; 4-byte Folded Spill
	v_add_f64 v[2:3], v[10:11], v[2:3]
	v_fma_f64 v[10:11], v[152:153], s[18:19], -v[0:1]
	v_mul_f64 v[0:1], v[26:27], s[44:45]
	buffer_store_dword v0, off, s[68:71], 0 offset:684 ; 4-byte Folded Spill
	buffer_store_dword v1, off, s[68:71], 0 offset:688 ; 4-byte Folded Spill
	v_add_f64 v[6:7], v[10:11], v[6:7]
	v_fma_f64 v[10:11], v[146:147], s[8:9], v[0:1]
	v_mul_f64 v[0:1], v[24:25], s[44:45]
	buffer_store_dword v0, off, s[68:71], 0 offset:652 ; 4-byte Folded Spill
	buffer_store_dword v1, off, s[68:71], 0 offset:656 ; 4-byte Folded Spill
	;; [unrolled: 10-line block ×5, first 2 shown]
	v_add_f64 v[2:3], v[10:11], v[2:3]
	v_fma_f64 v[10:11], v[182:183], s[6:7], -v[0:1]
	v_mul_f64 v[0:1], v[8:9], s[52:53]
	buffer_store_dword v0, off, s[68:71], 0 offset:596 ; 4-byte Folded Spill
	buffer_store_dword v1, off, s[68:71], 0 offset:600 ; 4-byte Folded Spill
	v_add_f64 v[6:7], v[10:11], v[6:7]
	v_fma_f64 v[10:11], v[168:169], s[4:5], -v[0:1]
	v_mul_f64 v[0:1], v[4:5], s[52:53]
	buffer_store_dword v0, off, s[68:71], 0 offset:604 ; 4-byte Folded Spill
	buffer_store_dword v1, off, s[68:71], 0 offset:608 ; 4-byte Folded Spill
	v_add_f64 v[6:7], v[10:11], v[6:7]
	v_fma_f64 v[10:11], v[186:187], s[4:5], v[0:1]
	v_add_f64 v[2:3], v[10:11], v[2:3]
	v_mul_f64 v[10:11], v[6:7], v[43:44]
	v_mul_f64 v[43:44], v[2:3], v[43:44]
	v_fma_f64 v[2:3], v[2:3], v[41:42], -v[10:11]
	v_fma_f64 v[10:11], v[254:255], s[6:7], -v[70:71]
	v_fma_f64 v[0:1], v[6:7], v[41:42], v[43:44]
	buffer_store_dword v0, off, s[68:71], 0 offset:16 ; 4-byte Folded Spill
	buffer_store_dword v1, off, s[68:71], 0 offset:20 ; 4-byte Folded Spill
	;; [unrolled: 1-line block ×4, first 2 shown]
	v_mul_f64 v[0:1], v[39:40], s[38:39]
	buffer_store_dword v0, off, s[68:71], 0 offset:724 ; 4-byte Folded Spill
	buffer_store_dword v1, off, s[68:71], 0 offset:728 ; 4-byte Folded Spill
	v_fma_f64 v[2:3], v[250:251], s[6:7], v[90:91]
	v_add_f64 v[10:11], v[33:34], v[10:11]
	v_mul_f64 v[39:40], v[39:40], s[52:53]
	v_fma_f64 v[90:91], v[250:251], s[6:7], -v[90:91]
	v_add_f64 v[2:3], v[35:36], v[2:3]
	v_add_f64 v[90:91], v[35:36], v[90:91]
	v_fma_f64 v[6:7], v[134:135], s[18:19], v[0:1]
	v_mul_f64 v[0:1], v[30:31], s[38:39]
	buffer_store_dword v0, off, s[68:71], 0 offset:708 ; 4-byte Folded Spill
	buffer_store_dword v1, off, s[68:71], 0 offset:712 ; 4-byte Folded Spill
	v_add_f64 v[2:3], v[6:7], v[2:3]
	v_mul_f64 v[6:7], v[120:121], s[38:39]
	v_fma_f64 v[41:42], v[140:141], s[18:19], -v[0:1]
	v_mul_f64 v[0:1], v[28:29], s[66:67]
	buffer_store_dword v0, off, s[68:71], 0 offset:716 ; 4-byte Folded Spill
	buffer_store_dword v1, off, s[68:71], 0 offset:720 ; 4-byte Folded Spill
	v_add_f64 v[10:11], v[41:42], v[10:11]
	v_fma_f64 v[41:42], v[138:139], s[8:9], v[232:233]
	buffer_store_dword v249, off, s[68:71], 0 offset:416 ; 4-byte Folded Spill
	v_mul_f64 v[248:249], v[12:13], s[54:55]
	v_add_f64 v[2:3], v[41:42], v[2:3]
	v_fma_f64 v[41:42], v[152:153], s[8:9], -v[0:1]
	v_add_f64 v[10:11], v[41:42], v[10:11]
	v_fma_f64 v[41:42], v[146:147], s[22:23], v[236:237]
	v_add_f64 v[2:3], v[41:42], v[2:3]
	v_fma_f64 v[41:42], v[160:161], s[22:23], -v[228:229]
	v_add_f64 v[10:11], v[41:42], v[10:11]
	v_fma_f64 v[41:42], v[150:151], s[34:35], v[240:241]
	;; [unrolled: 4-line block ×4, first 2 shown]
	v_add_f64 v[2:3], v[41:42], v[2:3]
	v_fma_f64 v[41:42], v[182:183], s[20:21], -v[238:239]
	v_add_f64 v[10:11], v[41:42], v[10:11]
	v_fma_f64 v[41:42], v[168:169], s[16:17], -v[242:243]
	v_add_f64 v[10:11], v[41:42], v[10:11]
	v_fma_f64 v[41:42], v[186:187], s[16:17], v[244:245]
	v_add_f64 v[2:3], v[41:42], v[2:3]
	v_mul_f64 v[41:42], v[10:11], v[66:67]
	v_mul_f64 v[43:44], v[2:3], v[66:67]
	v_fma_f64 v[2:3], v[2:3], v[45:46], -v[41:42]
	v_fma_f64 v[41:42], v[140:141], s[8:9], -v[224:225]
	v_mul_f64 v[65:66], v[16:17], s[56:57]
	v_fma_f64 v[0:1], v[10:11], v[45:46], v[43:44]
	buffer_store_dword v0, off, s[68:71], 0 offset:32 ; 4-byte Folded Spill
	buffer_store_dword v1, off, s[68:71], 0 offset:36 ; 4-byte Folded Spill
	;; [unrolled: 1-line block ×4, first 2 shown]
	v_fma_f64 v[2:3], v[250:251], s[20:21], v[80:81]
	v_fma_f64 v[10:11], v[134:135], s[8:9], v[200:201]
	v_fma_f64 v[45:46], v[140:141], s[16:17], -v[142:143]
	v_fma_f64 v[80:81], v[250:251], s[20:21], -v[80:81]
	v_add_f64 v[2:3], v[35:36], v[2:3]
	v_add_f64 v[80:81], v[35:36], v[80:81]
	;; [unrolled: 1-line block ×3, first 2 shown]
	v_fma_f64 v[10:11], v[254:255], s[20:21], -v[55:56]
	v_fma_f64 v[55:56], v[254:255], s[20:21], v[55:56]
	v_add_f64 v[10:11], v[33:34], v[10:11]
	v_add_f64 v[55:56], v[33:34], v[55:56]
	;; [unrolled: 1-line block ×3, first 2 shown]
	v_fma_f64 v[41:42], v[138:139], s[22:23], v[180:181]
	v_add_f64 v[2:3], v[41:42], v[2:3]
	v_fma_f64 v[41:42], v[152:153], s[22:23], -v[202:203]
	v_add_f64 v[10:11], v[41:42], v[10:11]
	v_fma_f64 v[41:42], v[146:147], s[4:5], v[174:175]
	v_add_f64 v[2:3], v[41:42], v[2:3]
	v_fma_f64 v[41:42], v[160:161], s[4:5], -v[198:199]
	v_add_f64 v[10:11], v[41:42], v[10:11]
	;; [unrolled: 4-line block ×5, first 2 shown]
	v_fma_f64 v[41:42], v[168:169], s[34:35], -v[188:189]
	v_add_f64 v[10:11], v[41:42], v[10:11]
	v_fma_f64 v[41:42], v[186:187], s[34:35], v[156:157]
	v_add_f64 v[2:3], v[41:42], v[2:3]
	v_mul_f64 v[41:42], v[10:11], v[51:52]
	v_mul_f64 v[43:44], v[2:3], v[51:52]
	v_fma_f64 v[2:3], v[2:3], v[53:54], -v[41:42]
	v_fma_f64 v[41:42], v[134:135], s[16:17], v[164:165]
	v_mul_f64 v[51:52], v[49:50], s[38:39]
	v_fma_f64 v[0:1], v[10:11], v[53:54], v[43:44]
	v_fma_f64 v[10:11], v[250:251], s[22:23], v[59:60]
	v_mul_f64 v[43:44], v[120:121], s[36:37]
	buffer_store_dword v0, off, s[68:71], 0 offset:48 ; 4-byte Folded Spill
	buffer_store_dword v1, off, s[68:71], 0 offset:52 ; 4-byte Folded Spill
	;; [unrolled: 1-line block ×4, first 2 shown]
	v_add_f64 v[10:11], v[35:36], v[10:11]
	v_fma_f64 v[53:54], v[158:159], s[34:35], v[65:66]
	v_fma_f64 v[59:60], v[250:251], s[22:23], -v[59:60]
	v_add_f64 v[10:11], v[41:42], v[10:11]
	v_fma_f64 v[41:42], v[254:255], s[22:23], -v[43:44]
	v_fma_f64 v[43:44], v[254:255], s[22:23], v[43:44]
	v_add_f64 v[59:60], v[35:36], v[59:60]
	v_add_f64 v[41:42], v[33:34], v[41:42]
	;; [unrolled: 1-line block ×4, first 2 shown]
	v_fma_f64 v[45:46], v[138:139], s[34:35], v[114:115]
	v_add_f64 v[10:11], v[45:46], v[10:11]
	v_fma_f64 v[45:46], v[152:153], s[34:35], -v[136:137]
	v_add_f64 v[41:42], v[45:46], v[41:42]
	v_fma_f64 v[45:46], v[146:147], s[6:7], v[108:109]
	v_add_f64 v[10:11], v[45:46], v[10:11]
	v_fma_f64 v[45:46], v[160:161], s[6:7], -v[130:131]
	v_add_f64 v[41:42], v[45:46], v[41:42]
	;; [unrolled: 4-line block ×5, first 2 shown]
	v_fma_f64 v[45:46], v[168:169], s[18:19], -v[101:102]
	v_add_f64 v[41:42], v[45:46], v[41:42]
	v_fma_f64 v[45:46], v[186:187], s[18:19], v[96:97]
	v_add_f64 v[10:11], v[45:46], v[10:11]
	v_mul_f64 v[45:46], v[41:42], v[47:48]
	v_mul_f64 v[47:48], v[10:11], v[47:48]
	v_fma_f64 v[2:3], v[10:11], v[62:63], -v[45:46]
	v_fma_f64 v[45:46], v[134:135], s[22:23], v[84:85]
	v_mul_f64 v[10:11], v[49:50], s[40:41]
	v_mul_f64 v[49:50], v[49:50], s[44:45]
	v_fma_f64 v[0:1], v[41:42], v[62:63], v[47:48]
	v_fma_f64 v[41:42], v[250:251], s[18:19], v[51:52]
	v_fma_f64 v[47:48], v[140:141], s[22:23], -v[88:89]
	v_mul_f64 v[63:64], v[12:13], s[44:45]
	buffer_store_dword v0, off, s[68:71], 0 offset:64 ; 4-byte Folded Spill
	buffer_store_dword v1, off, s[68:71], 0 offset:68 ; 4-byte Folded Spill
	;; [unrolled: 1-line block ×4, first 2 shown]
	v_add_f64 v[41:42], v[35:36], v[41:42]
	v_fma_f64 v[51:52], v[250:251], s[18:19], -v[51:52]
	v_fma_f64 v[61:62], v[166:167], s[8:9], v[63:64]
	v_add_f64 v[41:42], v[45:46], v[41:42]
	v_fma_f64 v[45:46], v[254:255], s[18:19], -v[6:7]
	v_fma_f64 v[6:7], v[254:255], s[18:19], v[6:7]
	v_add_f64 v[51:52], v[35:36], v[51:52]
	v_add_f64 v[45:46], v[33:34], v[45:46]
	;; [unrolled: 1-line block ×4, first 2 shown]
	v_fma_f64 v[47:48], v[138:139], s[4:5], v[112:113]
	v_add_f64 v[41:42], v[47:48], v[41:42]
	v_fma_f64 v[47:48], v[152:153], s[4:5], -v[86:87]
	v_add_f64 v[45:46], v[47:48], v[45:46]
	v_fma_f64 v[47:48], v[146:147], s[16:17], v[74:75]
	v_add_f64 v[41:42], v[47:48], v[41:42]
	v_fma_f64 v[47:48], v[160:161], s[16:17], -v[82:83]
	v_add_f64 v[45:46], v[47:48], v[45:46]
	;; [unrolled: 4-line block ×3, first 2 shown]
	v_add_f64 v[47:48], v[47:48], v[45:46]
	v_fma_f64 v[41:42], v[178:179], s[34:35], -v[76:77]
	v_mul_f64 v[45:46], v[30:31], s[46:47]
	v_mul_f64 v[30:31], v[30:31], s[52:53]
	v_add_f64 v[194:195], v[61:62], v[53:54]
	v_mul_f64 v[61:62], v[14:15], s[44:45]
	v_add_f64 v[47:48], v[41:42], v[47:48]
	v_mul_f64 v[41:42], v[4:5], s[36:37]
	v_fma_f64 v[53:54], v[182:183], s[8:9], -v[61:62]
	v_add_f64 v[47:48], v[53:54], v[47:48]
	v_mul_f64 v[53:54], v[8:9], s[46:47]
	v_fma_f64 v[196:197], v[168:169], s[6:7], -v[53:54]
	v_add_f64 v[0:1], v[196:197], v[47:48]
	v_mul_f64 v[47:48], v[4:5], s[46:47]
	v_mul_f64 v[4:5], v[4:5], s[42:43]
	v_fma_f64 v[196:197], v[186:187], s[6:7], v[47:48]
	v_add_f64 v[194:195], v[196:197], v[194:195]
	v_mul_f64 v[196:197], v[0:1], v[124:125]
	v_mul_f64 v[124:125], v[194:195], v[124:125]
	v_fma_f64 v[2:3], v[194:195], v[122:123], -v[196:197]
	v_fma_f64 v[194:195], v[140:141], s[6:7], -v[45:46]
	v_fma_f64 v[0:1], v[0:1], v[122:123], v[124:125]
	v_fma_f64 v[122:123], v[250:251], s[16:17], v[10:11]
	buffer_store_dword v0, off, s[68:71], 0 offset:104 ; 4-byte Folded Spill
	buffer_store_dword v1, off, s[68:71], 0 offset:108 ; 4-byte Folded Spill
	;; [unrolled: 1-line block ×4, first 2 shown]
	v_add_f64 v[122:123], v[35:36], v[122:123]
	v_fma_f64 v[124:125], v[134:135], s[6:7], v[132:133]
	v_mul_f64 v[2:3], v[120:121], s[40:41]
	v_fma_f64 v[10:11], v[250:251], s[16:17], -v[10:11]
	v_add_f64 v[122:123], v[124:125], v[122:123]
	v_fma_f64 v[124:125], v[254:255], s[16:17], -v[2:3]
	v_fma_f64 v[2:3], v[254:255], s[16:17], v[2:3]
	v_add_f64 v[10:11], v[35:36], v[10:11]
	v_add_f64 v[124:125], v[33:34], v[124:125]
	;; [unrolled: 1-line block ×4, first 2 shown]
	v_mul_f64 v[194:195], v[37:38], s[54:55]
	v_mul_f64 v[37:38], v[37:38], s[40:41]
	v_fma_f64 v[196:197], v[138:139], s[20:21], v[194:195]
	v_add_f64 v[122:123], v[196:197], v[122:123]
	v_mul_f64 v[196:197], v[28:29], s[54:55]
	v_mul_f64 v[28:29], v[28:29], s[40:41]
	v_fma_f64 v[208:209], v[152:153], s[20:21], -v[196:197]
	v_add_f64 v[124:125], v[208:209], v[124:125]
	v_mul_f64 v[208:209], v[26:27], s[58:59]
	v_mul_f64 v[26:27], v[26:27], s[48:49]
	v_fma_f64 v[210:211], v[146:147], s[18:19], v[208:209]
	v_add_f64 v[122:123], v[210:211], v[122:123]
	v_mul_f64 v[210:211], v[24:25], s[58:59]
	v_mul_f64 v[24:25], v[24:25], s[48:49]
	v_fma_f64 v[212:213], v[160:161], s[18:19], -v[210:211]
	v_add_f64 v[124:125], v[212:213], v[124:125]
	;; [unrolled: 8-line block ×5, first 2 shown]
	v_mul_f64 v[206:207], v[8:9], s[36:37]
	v_mul_f64 v[8:9], v[8:9], s[42:43]
	v_fma_f64 v[222:223], v[168:169], s[22:23], -v[206:207]
	v_add_f64 v[222:223], v[222:223], v[124:125]
	v_fma_f64 v[124:125], v[186:187], s[22:23], v[41:42]
	v_add_f64 v[122:123], v[124:125], v[122:123]
	v_mul_f64 v[124:125], v[222:223], v[57:58]
	v_mul_f64 v[57:58], v[122:123], v[57:58]
	v_fma_f64 v[124:125], v[122:123], v[68:69], -v[124:125]
	v_fma_f64 v[122:123], v[222:223], v[68:69], v[57:58]
	v_fma_f64 v[57:58], v[250:251], s[8:9], v[49:50]
	;; [unrolled: 1-line block ×3, first 2 shown]
	v_fma_f64 v[222:223], v[140:141], s[4:5], -v[30:31]
	v_fma_f64 v[49:50], v[250:251], s[8:9], -v[49:50]
	;; [unrolled: 1-line block ×3, first 2 shown]
	v_add_f64 v[57:58], v[35:36], v[57:58]
	v_add_f64 v[49:50], v[35:36], v[49:50]
	;; [unrolled: 1-line block ×3, first 2 shown]
	v_mul_f64 v[67:68], v[120:121], s[44:45]
	v_add_f64 v[39:40], v[39:40], v[49:50]
	v_fma_f64 v[119:120], v[254:255], s[8:9], -v[67:68]
	v_add_f64 v[119:120], v[33:34], v[119:120]
	v_add_f64 v[119:120], v[222:223], v[119:120]
	v_fma_f64 v[222:223], v[138:139], s[16:17], v[37:38]
	v_add_f64 v[57:58], v[222:223], v[57:58]
	v_fma_f64 v[222:223], v[152:153], s[16:17], -v[28:29]
	v_add_f64 v[119:120], v[222:223], v[119:120]
	v_fma_f64 v[222:223], v[146:147], s[34:35], v[26:27]
	v_fma_f64 v[26:27], v[146:147], s[34:35], -v[26:27]
	v_add_f64 v[57:58], v[222:223], v[57:58]
	v_fma_f64 v[222:223], v[160:161], s[34:35], -v[24:25]
	v_add_f64 v[119:120], v[222:223], v[119:120]
	v_fma_f64 v[222:223], v[150:151], s[18:19], v[22:23]
	v_fma_f64 v[22:23], v[150:151], s[18:19], -v[22:23]
	v_add_f64 v[57:58], v[222:223], v[57:58]
	v_fma_f64 v[222:223], v[170:171], s[18:19], -v[20:21]
	v_add_f64 v[119:120], v[222:223], v[119:120]
	v_fma_f64 v[222:223], v[158:159], s[6:7], v[16:17]
	v_fma_f64 v[16:17], v[158:159], s[6:7], -v[16:17]
	v_add_f64 v[57:58], v[222:223], v[57:58]
	v_fma_f64 v[222:223], v[166:167], s[22:23], v[12:13]
	v_fma_f64 v[12:13], v[166:167], s[22:23], -v[12:13]
	v_add_f64 v[57:58], v[222:223], v[57:58]
	v_fma_f64 v[222:223], v[178:179], s[6:7], -v[18:19]
	v_add_f64 v[119:120], v[222:223], v[119:120]
	v_fma_f64 v[222:223], v[182:183], s[22:23], -v[14:15]
	v_fma_f64 v[14:15], v[182:183], s[22:23], v[14:15]
	v_add_f64 v[119:120], v[222:223], v[119:120]
	v_fma_f64 v[222:223], v[168:169], s[20:21], -v[8:9]
	v_fma_f64 v[8:9], v[168:169], s[20:21], v[8:9]
	v_add_f64 v[119:120], v[222:223], v[119:120]
	v_fma_f64 v[222:223], v[186:187], s[20:21], v[4:5]
	v_fma_f64 v[4:5], v[186:187], s[20:21], -v[4:5]
	v_add_f64 v[57:58], v[222:223], v[57:58]
	v_mul_f64 v[222:223], v[119:120], v[128:129]
	v_mul_f64 v[0:1], v[57:58], v[128:129]
	v_fma_f64 v[128:129], v[57:58], v[126:127], -v[222:223]
	v_fma_f64 v[57:58], v[254:255], s[6:7], v[70:71]
	v_fma_f64 v[69:70], v[254:255], s[4:5], v[226:227]
	v_fma_f64 v[126:127], v[119:120], v[126:127], v[0:1]
	v_fma_f64 v[0:1], v[254:255], s[8:9], v[67:68]
	v_fma_f64 v[67:68], v[254:255], s[34:35], v[99:100]
	v_fma_f64 v[98:99], v[250:251], s[34:35], -v[144:145]
	v_fma_f64 v[119:120], v[250:251], s[4:5], -v[252:253]
	v_add_f64 v[57:58], v[33:34], v[57:58]
	v_add_f64 v[69:70], v[33:34], v[69:70]
	;; [unrolled: 1-line block ×8, first 2 shown]
	v_fma_f64 v[36:37], v[138:139], s[16:17], -v[37:38]
	v_add_f64 v[36:37], v[36:37], v[39:40]
	v_add_f64 v[26:27], v[26:27], v[36:37]
	;; [unrolled: 1-line block ×5, first 2 shown]
	v_fma_f64 v[16:17], v[140:141], s[4:5], v[30:31]
	v_add_f64 v[4:5], v[4:5], v[12:13]
	v_add_f64 v[0:1], v[16:17], v[0:1]
	v_fma_f64 v[16:17], v[152:153], s[16:17], v[28:29]
	v_fma_f64 v[12:13], v[138:139], s[4:5], -v[112:113]
	v_add_f64 v[0:1], v[16:17], v[0:1]
	v_fma_f64 v[16:17], v[160:161], s[34:35], v[24:25]
	v_add_f64 v[0:1], v[16:17], v[0:1]
	v_fma_f64 v[16:17], v[170:171], s[18:19], v[20:21]
	v_fma_f64 v[20:21], v[152:153], s[22:23], v[202:203]
	v_add_f64 v[0:1], v[16:17], v[0:1]
	v_fma_f64 v[16:17], v[178:179], s[6:7], v[18:19]
	v_add_f64 v[0:1], v[16:17], v[0:1]
	;; [unrolled: 2-line block ×3, first 2 shown]
	v_add_f64 v[0:1], v[8:9], v[0:1]
	v_fma_f64 v[8:9], v[134:135], s[6:7], -v[132:133]
	v_add_f64 v[8:9], v[8:9], v[10:11]
	v_fma_f64 v[10:11], v[138:139], s[20:21], -v[194:195]
	;; [unrolled: 2-line block ×6, first 2 shown]
	v_add_f64 v[8:9], v[10:11], v[8:9]
	v_fma_f64 v[10:11], v[140:141], s[6:7], v[45:46]
	v_add_f64 v[2:3], v[10:11], v[2:3]
	v_fma_f64 v[10:11], v[152:153], s[20:21], v[196:197]
	;; [unrolled: 2-line block ×7, first 2 shown]
	v_add_f64 v[10:11], v[10:11], v[2:3]
	v_fma_f64 v[2:3], v[186:187], s[22:23], -v[41:42]
	v_add_f64 v[8:9], v[2:3], v[8:9]
	v_fma_f64 v[2:3], v[134:135], s[22:23], -v[84:85]
	v_add_f64 v[2:3], v[2:3], v[51:52]
	v_add_f64 v[2:3], v[12:13], v[2:3]
	v_fma_f64 v[12:13], v[146:147], s[16:17], -v[74:75]
	v_add_f64 v[2:3], v[12:13], v[2:3]
	v_fma_f64 v[12:13], v[150:151], s[20:21], -v[72:73]
	v_add_f64 v[2:3], v[12:13], v[2:3]
	v_fma_f64 v[12:13], v[158:159], s[34:35], -v[65:66]
	v_add_f64 v[2:3], v[12:13], v[2:3]
	v_fma_f64 v[12:13], v[166:167], s[8:9], -v[63:64]
	v_add_f64 v[2:3], v[12:13], v[2:3]
	v_fma_f64 v[12:13], v[140:141], s[22:23], v[88:89]
	v_add_f64 v[6:7], v[12:13], v[6:7]
	v_fma_f64 v[12:13], v[152:153], s[4:5], v[86:87]
	v_add_f64 v[6:7], v[12:13], v[6:7]
	v_fma_f64 v[12:13], v[160:161], s[16:17], v[82:83]
	v_add_f64 v[6:7], v[12:13], v[6:7]
	v_fma_f64 v[12:13], v[170:171], s[20:21], v[78:79]
	v_add_f64 v[6:7], v[12:13], v[6:7]
	v_fma_f64 v[12:13], v[178:179], s[34:35], v[76:77]
	v_add_f64 v[6:7], v[12:13], v[6:7]
	v_fma_f64 v[12:13], v[182:183], s[8:9], v[61:62]
	v_add_f64 v[6:7], v[12:13], v[6:7]
	v_fma_f64 v[12:13], v[168:169], s[6:7], v[53:54]
	v_add_f64 v[12:13], v[12:13], v[6:7]
	v_fma_f64 v[6:7], v[186:187], s[6:7], -v[47:48]
	v_add_f64 v[14:15], v[6:7], v[2:3]
	v_fma_f64 v[2:3], v[134:135], s[16:17], -v[164:165]
	v_fma_f64 v[6:7], v[138:139], s[34:35], -v[114:115]
	v_add_f64 v[2:3], v[2:3], v[59:60]
	v_add_f64 v[2:3], v[6:7], v[2:3]
	v_fma_f64 v[6:7], v[146:147], s[6:7], -v[108:109]
	v_add_f64 v[2:3], v[6:7], v[2:3]
	v_fma_f64 v[6:7], v[150:151], s[8:9], -v[104:105]
	;; [unrolled: 2-line block ×4, first 2 shown]
	v_add_f64 v[2:3], v[6:7], v[2:3]
	v_fma_f64 v[6:7], v[140:141], s[16:17], v[142:143]
	v_add_f64 v[6:7], v[6:7], v[43:44]
	v_add_f64 v[6:7], v[16:17], v[6:7]
	v_fma_f64 v[16:17], v[160:161], s[6:7], v[130:131]
	v_add_f64 v[6:7], v[16:17], v[6:7]
	v_fma_f64 v[16:17], v[170:171], s[8:9], v[117:118]
	;; [unrolled: 2-line block ×5, first 2 shown]
	v_add_f64 v[16:17], v[16:17], v[6:7]
	v_fma_f64 v[6:7], v[186:187], s[18:19], -v[96:97]
	v_add_f64 v[18:19], v[6:7], v[2:3]
	v_fma_f64 v[2:3], v[134:135], s[8:9], -v[200:201]
	v_fma_f64 v[6:7], v[138:139], s[22:23], -v[180:181]
	v_add_f64 v[2:3], v[2:3], v[80:81]
	v_add_f64 v[2:3], v[6:7], v[2:3]
	v_fma_f64 v[6:7], v[146:147], s[4:5], -v[174:175]
	v_add_f64 v[2:3], v[6:7], v[2:3]
	v_fma_f64 v[6:7], v[150:151], s[6:7], -v[162:163]
	;; [unrolled: 2-line block ×4, first 2 shown]
	v_add_f64 v[2:3], v[6:7], v[2:3]
	v_fma_f64 v[6:7], v[140:141], s[8:9], v[224:225]
	v_add_f64 v[6:7], v[6:7], v[55:56]
	v_add_f64 v[6:7], v[20:21], v[6:7]
	v_fma_f64 v[20:21], v[160:161], s[4:5], v[198:199]
	v_add_f64 v[6:7], v[20:21], v[6:7]
	v_fma_f64 v[20:21], v[170:171], s[6:7], v[184:185]
	v_add_f64 v[6:7], v[20:21], v[6:7]
	v_fma_f64 v[20:21], v[178:179], s[16:17], v[176:177]
	v_add_f64 v[6:7], v[20:21], v[6:7]
	v_fma_f64 v[20:21], v[182:183], s[18:19], v[172:173]
	v_add_f64 v[6:7], v[20:21], v[6:7]
	v_fma_f64 v[20:21], v[168:169], s[34:35], v[188:189]
	v_add_f64 v[20:21], v[20:21], v[6:7]
	v_fma_f64 v[6:7], v[186:187], s[34:35], -v[156:157]
	v_add_f64 v[22:23], v[6:7], v[2:3]
	s_clause 0x1
	buffer_load_dword v2, off, s[68:71], 0 offset:724
	buffer_load_dword v3, off, s[68:71], 0 offset:728
	v_fma_f64 v[6:7], v[138:139], s[8:9], -v[232:233]
	s_waitcnt vmcnt(0)
	v_fma_f64 v[2:3], v[134:135], s[18:19], -v[2:3]
	v_add_f64 v[2:3], v[2:3], v[90:91]
	v_add_f64 v[2:3], v[6:7], v[2:3]
	v_fma_f64 v[6:7], v[146:147], s[22:23], -v[236:237]
	v_add_f64 v[2:3], v[6:7], v[2:3]
	v_fma_f64 v[6:7], v[150:151], s[34:35], -v[240:241]
	;; [unrolled: 2-line block ×4, first 2 shown]
	v_add_f64 v[2:3], v[6:7], v[2:3]
	s_clause 0x3
	buffer_load_dword v6, off, s[68:71], 0 offset:708
	buffer_load_dword v7, off, s[68:71], 0 offset:712
	buffer_load_dword v24, off, s[68:71], 0 offset:716
	buffer_load_dword v25, off, s[68:71], 0 offset:720
	s_waitcnt vmcnt(2)
	v_fma_f64 v[6:7], v[140:141], s[18:19], v[6:7]
	s_waitcnt vmcnt(0)
	v_fma_f64 v[24:25], v[152:153], s[8:9], v[24:25]
	v_add_f64 v[6:7], v[6:7], v[57:58]
	v_add_f64 v[6:7], v[24:25], v[6:7]
	v_fma_f64 v[24:25], v[160:161], s[22:23], v[228:229]
	v_add_f64 v[6:7], v[24:25], v[6:7]
	v_fma_f64 v[24:25], v[170:171], s[34:35], v[230:231]
	;; [unrolled: 2-line block ×5, first 2 shown]
	v_add_f64 v[24:25], v[24:25], v[6:7]
	v_fma_f64 v[6:7], v[186:187], s[16:17], -v[244:245]
	v_add_f64 v[26:27], v[6:7], v[2:3]
	s_clause 0x7
	buffer_load_dword v2, off, s[68:71], 0 offset:460
	buffer_load_dword v3, off, s[68:71], 0 offset:464
	;; [unrolled: 1-line block ×8, first 2 shown]
	s_waitcnt vmcnt(6)
	v_add_f64 v[2:3], v[32:33], v[2:3]
	s_waitcnt vmcnt(4)
	v_add_f64 v[6:7], v[34:35], v[6:7]
	s_waitcnt vmcnt(2)
	v_fma_f64 v[28:29], v[134:135], s[20:21], -v[28:29]
	s_waitcnt vmcnt(0)
	v_add_f64 v[2:3], v[2:3], v[30:31]
	s_clause 0x1
	buffer_load_dword v30, off, s[68:71], 0 offset:468
	buffer_load_dword v31, off, s[68:71], 0 offset:472
	v_add_f64 v[28:29], v[28:29], v[98:99]
	s_waitcnt vmcnt(0)
	v_add_f64 v[6:7], v[6:7], v[30:31]
	s_clause 0x1
	buffer_load_dword v30, off, s[68:71], 0 offset:676
	buffer_load_dword v31, off, s[68:71], 0 offset:680
	s_waitcnt vmcnt(0)
	v_fma_f64 v[30:31], v[138:139], s[18:19], -v[30:31]
	v_add_f64 v[28:29], v[30:31], v[28:29]
	s_clause 0x1
	buffer_load_dword v30, off, s[68:71], 0 offset:500
	buffer_load_dword v31, off, s[68:71], 0 offset:504
	s_waitcnt vmcnt(0)
	v_add_f64 v[2:3], v[2:3], v[30:31]
	s_clause 0x1
	buffer_load_dword v30, off, s[68:71], 0 offset:484
	buffer_load_dword v31, off, s[68:71], 0 offset:488
	s_waitcnt vmcnt(0)
	v_add_f64 v[6:7], v[6:7], v[30:31]
	s_clause 0x1
	buffer_load_dword v30, off, s[68:71], 0 offset:684
	buffer_load_dword v31, off, s[68:71], 0 offset:688
	s_waitcnt vmcnt(0)
	v_fma_f64 v[30:31], v[146:147], s[8:9], -v[30:31]
	v_add_f64 v[28:29], v[30:31], v[28:29]
	s_clause 0x1
	buffer_load_dword v30, off, s[68:71], 0 offset:524
	buffer_load_dword v31, off, s[68:71], 0 offset:528
	s_waitcnt vmcnt(0)
	v_add_f64 v[2:3], v[2:3], v[30:31]
	s_clause 0x1
	buffer_load_dword v30, off, s[68:71], 0 offset:516
	buffer_load_dword v31, off, s[68:71], 0 offset:520
	;; [unrolled: 16-line block ×4, first 2 shown]
	s_waitcnt vmcnt(0)
	v_add_f64 v[6:7], v[6:7], v[30:31]
	s_clause 0x3
	buffer_load_dword v30, off, s[68:71], 0 offset:644
	buffer_load_dword v31, off, s[68:71], 0 offset:648
	;; [unrolled: 1-line block ×4, first 2 shown]
	s_waitcnt vmcnt(2)
	v_fma_f64 v[30:31], v[140:141], s[20:21], v[30:31]
	s_waitcnt vmcnt(0)
	v_add_f64 v[2:3], v[2:3], v[32:33]
	s_clause 0x1
	buffer_load_dword v32, off, s[68:71], 0 offset:588
	buffer_load_dword v33, off, s[68:71], 0 offset:592
	v_add_f64 v[30:31], v[30:31], v[67:68]
	s_waitcnt vmcnt(0)
	v_add_f64 v[6:7], v[6:7], v[32:33]
	s_clause 0x1
	buffer_load_dword v32, off, s[68:71], 0 offset:660
	buffer_load_dword v33, off, s[68:71], 0 offset:664
	s_waitcnt vmcnt(0)
	v_fma_f64 v[32:33], v[152:153], s[18:19], v[32:33]
	v_add_f64 v[30:31], v[32:33], v[30:31]
	s_clause 0x5
	buffer_load_dword v32, off, s[68:71], 0 offset:304
	buffer_load_dword v33, off, s[68:71], 0 offset:308
	buffer_load_dword v34, off, s[68:71], 0 offset:312
	buffer_load_dword v35, off, s[68:71], 0 offset:316
	buffer_load_dword v36, off, s[68:71], 0 offset:556
	buffer_load_dword v37, off, s[68:71], 0 offset:560
	s_waitcnt vmcnt(4)
	v_fma_f64 v[32:33], v[134:135], s[34:35], -v[32:33]
	s_waitcnt vmcnt(2)
	v_fma_f64 v[34:35], v[140:141], s[34:35], v[34:35]
	s_waitcnt vmcnt(0)
	v_add_f64 v[2:3], v[2:3], v[36:37]
	s_clause 0x1
	buffer_load_dword v36, off, s[68:71], 0 offset:564
	buffer_load_dword v37, off, s[68:71], 0 offset:568
	v_add_f64 v[32:33], v[32:33], v[119:120]
	v_add_f64 v[34:35], v[34:35], v[69:70]
	s_waitcnt vmcnt(0)
	v_add_f64 v[6:7], v[6:7], v[36:37]
	s_clause 0x1
	buffer_load_dword v36, off, s[68:71], 0 offset:652
	buffer_load_dword v37, off, s[68:71], 0 offset:656
	s_waitcnt vmcnt(0)
	v_fma_f64 v[36:37], v[160:161], s[8:9], v[36:37]
	v_add_f64 v[30:31], v[36:37], v[30:31]
	s_clause 0x5
	buffer_load_dword v36, off, s[68:71], 0 offset:320
	buffer_load_dword v37, off, s[68:71], 0 offset:324
	buffer_load_dword v38, off, s[68:71], 0 offset:360
	buffer_load_dword v39, off, s[68:71], 0 offset:364
	buffer_load_dword v40, off, s[68:71], 0 offset:508
	buffer_load_dword v41, off, s[68:71], 0 offset:512
	s_waitcnt vmcnt(4)
	v_fma_f64 v[36:37], v[138:139], s[6:7], -v[36:37]
	s_waitcnt vmcnt(2)
	v_fma_f64 v[38:39], v[152:153], s[6:7], v[38:39]
	s_waitcnt vmcnt(0)
	v_add_f64 v[2:3], v[2:3], v[40:41]
	s_clause 0x1
	buffer_load_dword v40, off, s[68:71], 0 offset:492
	buffer_load_dword v41, off, s[68:71], 0 offset:496
	v_add_f64 v[32:33], v[36:37], v[32:33]
	;; [unrolled: 26-line block ×4, first 2 shown]
	v_add_f64 v[34:35], v[38:39], v[34:35]
	s_waitcnt vmcnt(0)
	v_add_f64 v[6:7], v[6:7], v[40:41]
	s_clause 0x1
	buffer_load_dword v40, off, s[68:71], 0 offset:620
	buffer_load_dword v41, off, s[68:71], 0 offset:624
	s_waitcnt vmcnt(0)
	v_fma_f64 v[40:41], v[166:167], s[6:7], -v[40:41]
	v_add_f64 v[28:29], v[40:41], v[28:29]
	s_clause 0x5
	buffer_load_dword v40, off, s[68:71], 0 offset:376
	buffer_load_dword v41, off, s[68:71], 0 offset:380
	;; [unrolled: 1-line block ×6, first 2 shown]
	s_waitcnt vmcnt(4)
	v_fma_f64 v[40:41], v[158:159], s[18:19], -v[40:41]
	s_waitcnt vmcnt(2)
	v_fma_f64 v[42:43], v[178:179], s[18:19], v[42:43]
	s_waitcnt vmcnt(0)
	v_add_f64 v[2:3], v[2:3], v[36:37]
	s_clause 0x1
	buffer_load_dword v36, off, s[68:71], 0 offset:288
	buffer_load_dword v37, off, s[68:71], 0 offset:292
	v_add_f64 v[32:33], v[40:41], v[32:33]
	v_add_f64 v[34:35], v[42:43], v[34:35]
	s_waitcnt vmcnt(0)
	v_add_f64 v[6:7], v[6:7], v[36:37]
	s_clause 0x1
	buffer_load_dword v36, off, s[68:71], 0 offset:612
	buffer_load_dword v37, off, s[68:71], 0 offset:616
	s_waitcnt vmcnt(0)
	v_fma_f64 v[36:37], v[182:183], s[6:7], v[36:37]
	v_add_f64 v[30:31], v[36:37], v[30:31]
	s_clause 0x5
	buffer_load_dword v36, off, s[68:71], 0 offset:384
	buffer_load_dword v37, off, s[68:71], 0 offset:388
	;; [unrolled: 1-line block ×6, first 2 shown]
	s_waitcnt vmcnt(4)
	v_fma_f64 v[36:37], v[166:167], s[16:17], -v[36:37]
	s_waitcnt vmcnt(2)
	v_fma_f64 v[38:39], v[182:183], s[16:17], v[38:39]
	s_waitcnt vmcnt(0)
	v_add_f64 v[2:3], v[2:3], v[40:41]
	s_clause 0x1
	buffer_load_dword v40, off, s[68:71], 0 offset:272
	buffer_load_dword v41, off, s[68:71], 0 offset:276
	v_add_f64 v[32:33], v[36:37], v[32:33]
	v_add_f64 v[34:35], v[38:39], v[34:35]
	s_waitcnt vmcnt(0)
	v_add_f64 v[6:7], v[6:7], v[40:41]
	s_clause 0x1
	buffer_load_dword v40, off, s[68:71], 0 offset:596
	buffer_load_dword v41, off, s[68:71], 0 offset:600
	s_waitcnt vmcnt(0)
	v_fma_f64 v[40:41], v[168:169], s[4:5], v[40:41]
	v_add_f64 v[40:41], v[40:41], v[30:31]
	s_clause 0x11
	buffer_load_dword v30, off, s[68:71], 0 offset:604
	buffer_load_dword v31, off, s[68:71], 0 offset:608
	;; [unrolled: 1-line block ×18, first 2 shown]
	s_waitcnt vmcnt(16)
	v_fma_f64 v[30:31], v[186:187], s[4:5], -v[30:31]
	s_waitcnt vmcnt(14)
	v_fma_f64 v[42:43], v[186:187], s[8:9], -v[42:43]
	s_add_u32 s4, s24, s14
	s_waitcnt vmcnt(10)
	v_add_f64 v[38:39], v[2:3], v[38:39]
	s_waitcnt vmcnt(8)
	v_mul_f64 v[2:3], v[0:1], v[46:47]
	v_mul_f64 v[46:47], v[4:5], v[46:47]
	s_waitcnt vmcnt(6)
	v_add_f64 v[6:7], v[6:7], v[48:49]
	s_waitcnt vmcnt(4)
	v_mul_f64 v[48:49], v[10:11], v[50:51]
	v_mul_f64 v[50:51], v[8:9], v[50:51]
	s_waitcnt vmcnt(2)
	v_mul_f64 v[36:37], v[12:13], v[52:53]
	v_mul_f64 v[52:53], v[14:15], v[52:53]
	s_addc_u32 s5, s25, s15
	v_fma_f64 v[44:45], v[168:169], s[8:9], v[44:45]
	v_add_f64 v[28:29], v[30:31], v[28:29]
	v_add_f64 v[32:33], v[42:43], v[32:33]
	s_waitcnt vmcnt(0)
	v_fma_f64 v[2:3], v[4:5], v[54:55], -v[2:3]
	v_fma_f64 v[0:1], v[0:1], v[54:55], v[46:47]
	s_clause 0x5
	buffer_load_dword v4, off, s[68:71], 0 offset:224
	buffer_load_dword v5, off, s[68:71], 0 offset:228
	;; [unrolled: 1-line block ×6, first 2 shown]
	v_add_f64 v[44:45], v[44:45], v[34:35]
	s_waitcnt vmcnt(4)
	v_mul_f64 v[46:47], v[16:17], v[4:5]
	s_waitcnt vmcnt(2)
	v_add_f64 v[38:39], v[38:39], v[54:55]
	v_mul_f64 v[54:55], v[18:19], v[4:5]
	s_clause 0x1
	buffer_load_dword v4, off, s[68:71], 0 offset:240
	buffer_load_dword v5, off, s[68:71], 0 offset:244
	s_waitcnt vmcnt(2)
	v_mul_f64 v[56:57], v[20:21], v[60:61]
	s_waitcnt vmcnt(0)
	v_add_f64 v[58:59], v[6:7], v[4:5]
	s_clause 0x1
	buffer_load_dword v4, off, s[68:71], 0 offset:176
	buffer_load_dword v5, off, s[68:71], 0 offset:180
	s_waitcnt vmcnt(0)
	v_fma_f64 v[6:7], v[8:9], v[4:5], -v[48:49]
	s_clause 0x1
	buffer_load_dword v8, off, s[68:71], 0 offset:120
	buffer_load_dword v9, off, s[68:71], 0 offset:124
	v_fma_f64 v[4:5], v[10:11], v[4:5], v[50:51]
	v_mul_f64 v[48:49], v[22:23], v[60:61]
	v_mov_b32_e32 v60, 0x227
	s_waitcnt vmcnt(0)
	v_fma_f64 v[10:11], v[14:15], v[8:9], -v[36:37]
	v_fma_f64 v[8:9], v[12:13], v[8:9], v[52:53]
	s_clause 0x1
	buffer_load_dword v12, off, s[68:71], 0 offset:168
	buffer_load_dword v13, off, s[68:71], 0 offset:172
	s_waitcnt vmcnt(0)
	v_mul_f64 v[36:37], v[24:25], v[12:13]
	v_mul_f64 v[50:51], v[26:27], v[12:13]
	v_mul_u32_u24_sdwa v12, v103, v60 dst_sel:DWORD dst_unused:UNUSED_PAD src0_sel:WORD_0 src1_sel:DWORD
	s_clause 0x1
	buffer_load_dword v60, off, s[68:71], 0 offset:192
	buffer_load_dword v61, off, s[68:71], 0 offset:196
	v_lshrrev_b32_e32 v42, 16, v12
	s_clause 0x1
	buffer_load_dword v12, off, s[68:71], 0 offset:136
	buffer_load_dword v13, off, s[68:71], 0 offset:140
	s_waitcnt vmcnt(2)
	v_mul_f64 v[30:31], v[40:41], v[60:61]
	s_waitcnt vmcnt(0)
	v_fma_f64 v[14:15], v[18:19], v[12:13], -v[46:47]
	s_clause 0x3
	buffer_load_dword v46, off, s[68:71], 0 offset:96
	buffer_load_dword v47, off, s[68:71], 0 offset:100
	;; [unrolled: 1-line block ×4, first 2 shown]
	v_fma_f64 v[12:13], v[16:17], v[12:13], v[54:55]
	v_mul_lo_u16 v16, 0x121, v42
	s_load_dwordx2 s[4:5], s[4:5], 0x0
	v_add_nc_u32_sdwa v55, v116, v16 dst_sel:DWORD dst_unused:UNUSED_PAD src0_sel:DWORD src1_sel:WORD_0
	s_waitcnt vmcnt(2)
	v_mul_f64 v[34:35], v[38:39], v[46:47]
	s_waitcnt vmcnt(0)
	v_fma_f64 v[18:19], v[22:23], v[52:53], -v[56:57]
	v_fma_f64 v[16:17], v[20:21], v[52:53], v[48:49]
	s_clause 0x2
	buffer_load_dword v52, off, s[68:71], 0 offset:416
	buffer_load_dword v20, off, s[68:71], 0 offset:128
	;; [unrolled: 1-line block ×3, first 2 shown]
	v_mul_f64 v[42:43], v[58:59], v[46:47]
	v_mad_u64_u32 v[48:49], null, s0, v55, 0
	s_waitcnt vmcnt(2)
	v_mad_u64_u32 v[46:47], null, s2, v52, 0
	s_waitcnt vmcnt(0)
	v_fma_f64 v[22:23], v[26:27], v[20:21], -v[36:37]
	v_fma_f64 v[20:21], v[24:25], v[20:21], v[50:51]
	v_mul_f64 v[24:25], v[28:29], v[60:61]
	s_clause 0x1
	buffer_load_dword v60, off, s[68:71], 0 offset:144
	buffer_load_dword v61, off, s[68:71], 0 offset:148
	s_waitcnt lgkmcnt(0)
	s_mul_i32 s2, s5, s28
	s_waitcnt vmcnt(0)
	v_fma_f64 v[26:27], v[28:29], v[60:61], -v[30:31]
	s_clause 0x3
	buffer_load_dword v29, off, s[68:71], 0 offset:160
	buffer_load_dword v30, off, s[68:71], 0 offset:164
	;; [unrolled: 1-line block ×4, first 2 shown]
	v_fma_f64 v[24:25], v[40:41], v[60:61], v[24:25]
	s_clause 0x1
	buffer_load_dword v40, off, s[68:71], 0 offset:88
	buffer_load_dword v41, off, s[68:71], 0 offset:92
	v_mov_b32_e32 v28, v47
	s_waitcnt vmcnt(4)
	v_mul_f64 v[36:37], v[29:30], v[44:45]
	v_mul_f64 v[50:51], v[29:30], v[32:33]
	s_waitcnt vmcnt(2)
	v_fma_f64 v[30:31], v[58:59], v[56:57], -v[34:35]
	v_mov_b32_e32 v29, v49
	v_add_nc_u32_e32 v58, 51, v55
	v_mad_u64_u32 v[34:35], null, s3, v52, v[28:29]
	s_mul_hi_u32 s3, s4, s28
	s_add_i32 s3, s3, s2
	s_mul_i32 s2, s4, s28
	s_lshl_b64 s[2:3], s[2:3], 4
	v_mov_b32_e32 v47, v34
	s_add_u32 s4, s10, s2
	s_addc_u32 s5, s11, s3
	s_lshl_b64 s[2:3], s[26:27], 4
	v_lshlrev_b64 v[34:35], 4, v[46:47]
	s_add_u32 s2, s4, s2
	s_addc_u32 s3, s5, s3
	v_mad_u64_u32 v[52:53], null, s1, v55, v[29:30]
	v_add_nc_u32_e32 v53, 34, v55
	v_fma_f64 v[28:29], v[38:39], v[56:57], v[42:43]
	v_add_co_u32 v56, vcc_lo, s2, v34
	v_add_co_ci_u32_e32 v57, vcc_lo, s3, v35, vcc_lo
	v_mov_b32_e32 v49, v52
	v_add_nc_u32_e32 v52, 17, v55
	v_mad_u64_u32 v[42:43], null, s0, v53, 0
	v_lshlrev_b64 v[46:47], 4, v[48:49]
	v_mad_u64_u32 v[38:39], null, s0, v52, 0
	v_mov_b32_e32 v35, v43
	v_add_co_u32 v46, vcc_lo, v56, v46
	v_add_co_ci_u32_e32 v47, vcc_lo, v57, v47, vcc_lo
	v_mov_b32_e32 v34, v39
	global_store_dwordx4 v[46:47], v[28:31], off
	v_mad_u64_u32 v[48:49], null, s1, v52, v[34:35]
	v_mad_u64_u32 v[52:53], null, s1, v53, v[35:36]
	;; [unrolled: 1-line block ×3, first 2 shown]
	s_waitcnt vmcnt(0)
	v_fma_f64 v[34:35], v[40:41], v[32:33], -v[36:37]
	v_fma_f64 v[32:33], v[40:41], v[44:45], v[50:51]
	v_mov_b32_e32 v39, v48
	v_add_nc_u32_e32 v44, 0x44, v55
	v_mov_b32_e32 v43, v52
	v_add_nc_u32_e32 v45, 0x55, v55
	v_mov_b32_e32 v28, v54
	v_lshlrev_b64 v[29:30], 4, v[38:39]
	v_mad_u64_u32 v[39:40], null, s0, v44, 0
	v_mad_u64_u32 v[36:37], null, s1, v58, v[28:29]
	v_lshlrev_b64 v[37:38], 4, v[42:43]
	v_add_co_u32 v28, vcc_lo, v56, v29
	v_add_co_ci_u32_e32 v29, vcc_lo, v57, v30, vcc_lo
	v_mad_u64_u32 v[41:42], null, s0, v45, 0
	v_mov_b32_e32 v54, v36
	v_add_co_u32 v30, vcc_lo, v56, v37
	v_add_co_ci_u32_e32 v31, vcc_lo, v57, v38, vcc_lo
	v_lshlrev_b64 v[37:38], 4, v[53:54]
	v_mov_b32_e32 v36, v40
	global_store_dwordx4 v[28:29], v[32:35], off
	global_store_dwordx4 v[30:31], v[24:27], off
	v_mov_b32_e32 v26, v42
                                        ; kill: def $vgpr27 killed $sgpr0 killed $exec
	v_add_nc_u32_e32 v28, 0x66, v55
	v_add_nc_u32_e32 v29, 0x77, v55
	v_mad_u64_u32 v[43:44], null, s1, v44, v[36:37]
	v_add_co_u32 v24, vcc_lo, v56, v37
	v_add_co_ci_u32_e32 v25, vcc_lo, v57, v38, vcc_lo
	v_mad_u64_u32 v[26:27], null, s1, v45, v[26:27]
	v_mov_b32_e32 v40, v43
	global_store_dwordx4 v[24:25], v[20:23], off
	v_mad_u64_u32 v[20:21], null, s0, v28, 0
	v_lshlrev_b64 v[22:23], 4, v[39:40]
	v_mov_b32_e32 v42, v26
	v_add_co_u32 v22, vcc_lo, v56, v22
	v_lshlrev_b64 v[24:25], 4, v[41:42]
	v_add_co_ci_u32_e32 v23, vcc_lo, v57, v23, vcc_lo
	v_mad_u64_u32 v[26:27], null, s1, v28, v[21:22]
	v_mad_u64_u32 v[27:28], null, s0, v29, 0
	v_add_co_u32 v24, vcc_lo, v56, v24
	v_add_co_ci_u32_e32 v25, vcc_lo, v57, v25, vcc_lo
	global_store_dwordx4 v[22:23], v[16:19], off
	v_mov_b32_e32 v21, v26
	v_mov_b32_e32 v16, v28
	v_add_nc_u32_e32 v19, 0x88, v55
	global_store_dwordx4 v[24:25], v[12:15], off
	v_lshlrev_b64 v[12:13], 4, v[20:21]
	v_mad_u64_u32 v[14:15], null, s1, v29, v[16:17]
	v_mad_u64_u32 v[15:16], null, s0, v19, 0
	v_add_nc_u32_e32 v20, 0x99, v55
	v_add_co_u32 v12, vcc_lo, v56, v12
	v_add_co_ci_u32_e32 v13, vcc_lo, v57, v13, vcc_lo
	v_mov_b32_e32 v28, v14
	v_mad_u64_u32 v[17:18], null, s0, v20, 0
	v_mov_b32_e32 v14, v16
	v_add_nc_u32_e32 v21, 0xaa, v55
	global_store_dwordx4 v[12:13], v[8:11], off
	v_lshlrev_b64 v[8:9], 4, v[27:28]
	v_mad_u64_u32 v[10:11], null, s1, v19, v[14:15]
	v_mad_u64_u32 v[12:13], null, s0, v21, 0
	v_mov_b32_e32 v11, v18
	v_add_co_u32 v8, vcc_lo, v56, v8
	v_add_co_ci_u32_e32 v9, vcc_lo, v57, v9, vcc_lo
	v_mov_b32_e32 v16, v10
	v_mad_u64_u32 v[10:11], null, s1, v20, v[11:12]
	v_mov_b32_e32 v11, v13
	global_store_dwordx4 v[8:9], v[4:7], off
	v_lshlrev_b64 v[4:5], 4, v[15:16]
	v_add_nc_u32_e32 v14, 0xbb, v55
	v_mad_u64_u32 v[6:7], null, s1, v21, v[11:12]
	v_mov_b32_e32 v18, v10
	v_add_co_u32 v4, vcc_lo, v56, v4
	v_add_co_ci_u32_e32 v5, vcc_lo, v57, v5, vcc_lo
	v_lshlrev_b64 v[8:9], 4, v[17:18]
	v_mov_b32_e32 v13, v6
	v_mad_u64_u32 v[19:20], null, s0, v14, 0
	global_store_dwordx4 v[4:5], v[0:3], off
	v_add_nc_u32_e32 v10, 0xcc, v55
	v_lshlrev_b64 v[0:1], 4, v[12:13]
	v_add_co_u32 v2, vcc_lo, v56, v8
	v_add_co_ci_u32_e32 v3, vcc_lo, v57, v9, vcc_lo
	v_mov_b32_e32 v7, v20
	v_add_co_u32 v0, vcc_lo, v56, v0
	v_add_co_ci_u32_e32 v1, vcc_lo, v57, v1, vcc_lo
	global_store_dwordx4 v[2:3], v[126:129], off
	global_store_dwordx4 v[0:1], v[122:125], off
	v_mad_u64_u32 v[6:7], null, s1, v14, v[7:8]
	s_clause 0x3
	buffer_load_dword v13, off, s[68:71], 0 offset:104
	buffer_load_dword v14, off, s[68:71], 0 offset:108
	;; [unrolled: 1-line block ×4, first 2 shown]
	v_mad_u64_u32 v[4:5], null, s0, v10, 0
	v_add_nc_u32_e32 v11, 0xdd, v55
	v_add_nc_u32_e32 v12, 0xee, v55
	v_mov_b32_e32 v20, v6
	v_mov_b32_e32 v0, v5
	v_lshlrev_b64 v[6:7], 4, v[19:20]
	v_add_co_u32 v1, vcc_lo, v56, v6
	v_add_co_ci_u32_e32 v2, vcc_lo, v57, v7, vcc_lo
	v_mad_u64_u32 v[5:6], null, s1, v10, v[0:1]
	v_mad_u64_u32 v[6:7], null, s0, v11, 0
	v_lshlrev_b64 v[3:4], 4, v[4:5]
	v_add_nc_u32_e32 v5, 0x110, v55
	s_waitcnt vmcnt(0)
	global_store_dwordx4 v[1:2], v[13:16], off
	v_add_nc_u32_e32 v13, 0xff, v55
	v_mad_u64_u32 v[0:1], null, s0, v12, 0
	v_mov_b32_e32 v2, v7
	v_mad_u64_u32 v[8:9], null, s0, v13, 0
	v_mad_u64_u32 v[10:11], null, s1, v11, v[2:3]
	;; [unrolled: 1-line block ×3, first 2 shown]
	v_add_co_u32 v3, vcc_lo, v56, v3
	v_mov_b32_e32 v2, v9
	v_mad_u64_u32 v[11:12], null, s0, v5, 0
	v_mov_b32_e32 v7, v10
	v_add_co_ci_u32_e32 v4, vcc_lo, v57, v4, vcc_lo
	v_mad_u64_u32 v[9:10], null, s1, v13, v[2:3]
	s_clause 0x3
	buffer_load_dword v13, off, s[68:71], 0 offset:64
	buffer_load_dword v14, off, s[68:71], 0 offset:68
	;; [unrolled: 1-line block ×4, first 2 shown]
	v_mov_b32_e32 v2, v12
	v_lshlrev_b64 v[0:1], 4, v[0:1]
	s_waitcnt vmcnt(0)
	global_store_dwordx4 v[3:4], v[13:16], off
	v_lshlrev_b64 v[3:4], 4, v[6:7]
	v_mad_u64_u32 v[5:6], null, s1, v5, v[2:3]
	v_add_co_u32 v2, vcc_lo, v56, v3
	v_add_co_ci_u32_e32 v3, vcc_lo, v57, v4, vcc_lo
	v_lshlrev_b64 v[6:7], 4, v[8:9]
	v_add_co_u32 v0, vcc_lo, v56, v0
	v_mov_b32_e32 v12, v5
	v_add_co_ci_u32_e32 v1, vcc_lo, v57, v1, vcc_lo
	v_add_co_u32 v6, vcc_lo, v56, v6
	v_lshlrev_b64 v[4:5], 4, v[11:12]
	s_clause 0x3
	buffer_load_dword v8, off, s[68:71], 0 offset:48
	buffer_load_dword v9, off, s[68:71], 0 offset:52
	buffer_load_dword v10, off, s[68:71], 0 offset:56
	buffer_load_dword v11, off, s[68:71], 0 offset:60
	v_add_co_ci_u32_e32 v7, vcc_lo, v57, v7, vcc_lo
	v_add_co_u32 v4, vcc_lo, v56, v4
	v_add_co_ci_u32_e32 v5, vcc_lo, v57, v5, vcc_lo
	s_waitcnt vmcnt(0)
	global_store_dwordx4 v[2:3], v[8:11], off
	s_clause 0x3
	buffer_load_dword v8, off, s[68:71], 0 offset:32
	buffer_load_dword v9, off, s[68:71], 0 offset:36
	;; [unrolled: 1-line block ×4, first 2 shown]
	s_waitcnt vmcnt(0)
	global_store_dwordx4 v[0:1], v[8:11], off
	s_clause 0x3
	buffer_load_dword v0, off, s[68:71], 0 offset:16
	buffer_load_dword v1, off, s[68:71], 0 offset:20
	;; [unrolled: 1-line block ×4, first 2 shown]
	s_waitcnt vmcnt(0)
	global_store_dwordx4 v[6:7], v[0:3], off
	s_clause 0x3
	buffer_load_dword v0, off, s[68:71], 0
	buffer_load_dword v1, off, s[68:71], 0 offset:4
	buffer_load_dword v2, off, s[68:71], 0 offset:8
	;; [unrolled: 1-line block ×3, first 2 shown]
	s_waitcnt vmcnt(0)
	global_store_dwordx4 v[4:5], v[0:3], off
.LBB0_14:
	s_endpgm
	.section	.rodata,"a",@progbits
	.p2align	6, 0x0
	.amdhsa_kernel fft_rtc_back_len289_factors_17_17_wgs_119_tpt_17_dp_op_CI_CI_sbcc_twdbase8_2step_dirReg_intrinsicRead
		.amdhsa_group_segment_fixed_size 0
		.amdhsa_private_segment_fixed_size 736
		.amdhsa_kernarg_size 112
		.amdhsa_user_sgpr_count 6
		.amdhsa_user_sgpr_private_segment_buffer 1
		.amdhsa_user_sgpr_dispatch_ptr 0
		.amdhsa_user_sgpr_queue_ptr 0
		.amdhsa_user_sgpr_kernarg_segment_ptr 1
		.amdhsa_user_sgpr_dispatch_id 0
		.amdhsa_user_sgpr_flat_scratch_init 0
		.amdhsa_user_sgpr_private_segment_size 0
		.amdhsa_wavefront_size32 1
		.amdhsa_uses_dynamic_stack 0
		.amdhsa_system_sgpr_private_segment_wavefront_offset 1
		.amdhsa_system_sgpr_workgroup_id_x 1
		.amdhsa_system_sgpr_workgroup_id_y 0
		.amdhsa_system_sgpr_workgroup_id_z 0
		.amdhsa_system_sgpr_workgroup_info 0
		.amdhsa_system_vgpr_workitem_id 0
		.amdhsa_next_free_vgpr 256
		.amdhsa_next_free_sgpr 72
		.amdhsa_reserve_vcc 1
		.amdhsa_reserve_flat_scratch 0
		.amdhsa_float_round_mode_32 0
		.amdhsa_float_round_mode_16_64 0
		.amdhsa_float_denorm_mode_32 3
		.amdhsa_float_denorm_mode_16_64 3
		.amdhsa_dx10_clamp 1
		.amdhsa_ieee_mode 1
		.amdhsa_fp16_overflow 0
		.amdhsa_workgroup_processor_mode 1
		.amdhsa_memory_ordered 1
		.amdhsa_forward_progress 0
		.amdhsa_shared_vgpr_count 0
		.amdhsa_exception_fp_ieee_invalid_op 0
		.amdhsa_exception_fp_denorm_src 0
		.amdhsa_exception_fp_ieee_div_zero 0
		.amdhsa_exception_fp_ieee_overflow 0
		.amdhsa_exception_fp_ieee_underflow 0
		.amdhsa_exception_fp_ieee_inexact 0
		.amdhsa_exception_int_div_zero 0
	.end_amdhsa_kernel
	.text
.Lfunc_end0:
	.size	fft_rtc_back_len289_factors_17_17_wgs_119_tpt_17_dp_op_CI_CI_sbcc_twdbase8_2step_dirReg_intrinsicRead, .Lfunc_end0-fft_rtc_back_len289_factors_17_17_wgs_119_tpt_17_dp_op_CI_CI_sbcc_twdbase8_2step_dirReg_intrinsicRead
                                        ; -- End function
	.section	.AMDGPU.csdata,"",@progbits
; Kernel info:
; codeLenInByte = 21996
; NumSgprs: 74
; NumVgprs: 256
; ScratchSize: 736
; MemoryBound: 0
; FloatMode: 240
; IeeeMode: 1
; LDSByteSize: 0 bytes/workgroup (compile time only)
; SGPRBlocks: 9
; VGPRBlocks: 31
; NumSGPRsForWavesPerEU: 74
; NumVGPRsForWavesPerEU: 256
; Occupancy: 4
; WaveLimiterHint : 1
; COMPUTE_PGM_RSRC2:SCRATCH_EN: 1
; COMPUTE_PGM_RSRC2:USER_SGPR: 6
; COMPUTE_PGM_RSRC2:TRAP_HANDLER: 0
; COMPUTE_PGM_RSRC2:TGID_X_EN: 1
; COMPUTE_PGM_RSRC2:TGID_Y_EN: 0
; COMPUTE_PGM_RSRC2:TGID_Z_EN: 0
; COMPUTE_PGM_RSRC2:TIDIG_COMP_CNT: 0
	.text
	.p2alignl 6, 3214868480
	.fill 48, 4, 3214868480
	.type	__hip_cuid_4a1b80227f3ae429,@object ; @__hip_cuid_4a1b80227f3ae429
	.section	.bss,"aw",@nobits
	.globl	__hip_cuid_4a1b80227f3ae429
__hip_cuid_4a1b80227f3ae429:
	.byte	0                               ; 0x0
	.size	__hip_cuid_4a1b80227f3ae429, 1

	.ident	"AMD clang version 19.0.0git (https://github.com/RadeonOpenCompute/llvm-project roc-6.4.0 25133 c7fe45cf4b819c5991fe208aaa96edf142730f1d)"
	.section	".note.GNU-stack","",@progbits
	.addrsig
	.addrsig_sym __hip_cuid_4a1b80227f3ae429
	.amdgpu_metadata
---
amdhsa.kernels:
  - .args:
      - .actual_access:  read_only
        .address_space:  global
        .offset:         0
        .size:           8
        .value_kind:     global_buffer
      - .address_space:  global
        .offset:         8
        .size:           8
        .value_kind:     global_buffer
      - .offset:         16
        .size:           8
        .value_kind:     by_value
      - .actual_access:  read_only
        .address_space:  global
        .offset:         24
        .size:           8
        .value_kind:     global_buffer
      - .actual_access:  read_only
        .address_space:  global
        .offset:         32
        .size:           8
        .value_kind:     global_buffer
      - .actual_access:  read_only
        .address_space:  global
        .offset:         40
        .size:           8
        .value_kind:     global_buffer
      - .offset:         48
        .size:           8
        .value_kind:     by_value
      - .actual_access:  read_only
        .address_space:  global
        .offset:         56
        .size:           8
        .value_kind:     global_buffer
      - .actual_access:  read_only
        .address_space:  global
        .offset:         64
        .size:           8
        .value_kind:     global_buffer
      - .offset:         72
        .size:           4
        .value_kind:     by_value
      - .actual_access:  read_only
        .address_space:  global
        .offset:         80
        .size:           8
        .value_kind:     global_buffer
      - .actual_access:  read_only
        .address_space:  global
        .offset:         88
        .size:           8
        .value_kind:     global_buffer
      - .address_space:  global
        .offset:         96
        .size:           8
        .value_kind:     global_buffer
      - .actual_access:  write_only
        .address_space:  global
        .offset:         104
        .size:           8
        .value_kind:     global_buffer
    .group_segment_fixed_size: 0
    .kernarg_segment_align: 8
    .kernarg_segment_size: 112
    .language:       OpenCL C
    .language_version:
      - 2
      - 0
    .max_flat_workgroup_size: 119
    .name:           fft_rtc_back_len289_factors_17_17_wgs_119_tpt_17_dp_op_CI_CI_sbcc_twdbase8_2step_dirReg_intrinsicRead
    .private_segment_fixed_size: 736
    .sgpr_count:     74
    .sgpr_spill_count: 0
    .symbol:         fft_rtc_back_len289_factors_17_17_wgs_119_tpt_17_dp_op_CI_CI_sbcc_twdbase8_2step_dirReg_intrinsicRead.kd
    .uniform_work_group_size: 1
    .uses_dynamic_stack: false
    .vgpr_count:     256
    .vgpr_spill_count: 183
    .wavefront_size: 32
    .workgroup_processor_mode: 1
amdhsa.target:   amdgcn-amd-amdhsa--gfx1030
amdhsa.version:
  - 1
  - 2
...

	.end_amdgpu_metadata
